;; amdgpu-corpus repo=ROCm/rocFFT kind=compiled arch=gfx906 opt=O3
	.text
	.amdgcn_target "amdgcn-amd-amdhsa--gfx906"
	.amdhsa_code_object_version 6
	.protected	fft_rtc_back_len918_factors_17_9_2_3_wgs_102_tpt_102_halfLds_dp_op_CI_CI_unitstride_sbrr_C2R_dirReg ; -- Begin function fft_rtc_back_len918_factors_17_9_2_3_wgs_102_tpt_102_halfLds_dp_op_CI_CI_unitstride_sbrr_C2R_dirReg
	.globl	fft_rtc_back_len918_factors_17_9_2_3_wgs_102_tpt_102_halfLds_dp_op_CI_CI_unitstride_sbrr_C2R_dirReg
	.p2align	8
	.type	fft_rtc_back_len918_factors_17_9_2_3_wgs_102_tpt_102_halfLds_dp_op_CI_CI_unitstride_sbrr_C2R_dirReg,@function
fft_rtc_back_len918_factors_17_9_2_3_wgs_102_tpt_102_halfLds_dp_op_CI_CI_unitstride_sbrr_C2R_dirReg: ; @fft_rtc_back_len918_factors_17_9_2_3_wgs_102_tpt_102_halfLds_dp_op_CI_CI_unitstride_sbrr_C2R_dirReg
; %bb.0:
	s_load_dwordx4 s[8:11], s[4:5], 0x58
	s_load_dwordx4 s[12:15], s[4:5], 0x0
	;; [unrolled: 1-line block ×3, first 2 shown]
	v_mul_u32_u24_e32 v1, 0x283, v0
	v_add_u32_sdwa v5, s6, v1 dst_sel:DWORD dst_unused:UNUSED_PAD src0_sel:DWORD src1_sel:WORD_1
	v_mov_b32_e32 v3, 0
	s_waitcnt lgkmcnt(0)
	v_cmp_lt_u64_e64 s[0:1], s[14:15], 2
	v_mov_b32_e32 v1, 0
	v_mov_b32_e32 v6, v3
	s_and_b64 vcc, exec, s[0:1]
	v_mov_b32_e32 v2, 0
	s_cbranch_vccnz .LBB0_8
; %bb.1:
	s_load_dwordx2 s[0:1], s[4:5], 0x10
	s_add_u32 s2, s18, 8
	s_addc_u32 s3, s19, 0
	s_add_u32 s6, s16, 8
	v_mov_b32_e32 v1, 0
	s_addc_u32 s7, s17, 0
	v_mov_b32_e32 v2, 0
	s_waitcnt lgkmcnt(0)
	s_add_u32 s20, s0, 8
	v_mov_b32_e32 v109, v2
	s_addc_u32 s21, s1, 0
	s_mov_b64 s[22:23], 1
	v_mov_b32_e32 v108, v1
.LBB0_2:                                ; =>This Inner Loop Header: Depth=1
	s_load_dwordx2 s[24:25], s[20:21], 0x0
                                        ; implicit-def: $vgpr110_vgpr111
	s_waitcnt lgkmcnt(0)
	v_or_b32_e32 v4, s25, v6
	v_cmp_ne_u64_e32 vcc, 0, v[3:4]
	s_and_saveexec_b64 s[0:1], vcc
	s_xor_b64 s[26:27], exec, s[0:1]
	s_cbranch_execz .LBB0_4
; %bb.3:                                ;   in Loop: Header=BB0_2 Depth=1
	v_cvt_f32_u32_e32 v4, s24
	v_cvt_f32_u32_e32 v7, s25
	s_sub_u32 s0, 0, s24
	s_subb_u32 s1, 0, s25
	v_mac_f32_e32 v4, 0x4f800000, v7
	v_rcp_f32_e32 v4, v4
	v_mul_f32_e32 v4, 0x5f7ffffc, v4
	v_mul_f32_e32 v7, 0x2f800000, v4
	v_trunc_f32_e32 v7, v7
	v_mac_f32_e32 v4, 0xcf800000, v7
	v_cvt_u32_f32_e32 v7, v7
	v_cvt_u32_f32_e32 v4, v4
	v_mul_lo_u32 v8, s0, v7
	v_mul_hi_u32 v9, s0, v4
	v_mul_lo_u32 v11, s1, v4
	v_mul_lo_u32 v10, s0, v4
	v_add_u32_e32 v8, v9, v8
	v_add_u32_e32 v8, v8, v11
	v_mul_hi_u32 v9, v4, v10
	v_mul_lo_u32 v11, v4, v8
	v_mul_hi_u32 v13, v4, v8
	v_mul_hi_u32 v12, v7, v10
	v_mul_lo_u32 v10, v7, v10
	v_mul_hi_u32 v14, v7, v8
	v_add_co_u32_e32 v9, vcc, v9, v11
	v_addc_co_u32_e32 v11, vcc, 0, v13, vcc
	v_mul_lo_u32 v8, v7, v8
	v_add_co_u32_e32 v9, vcc, v9, v10
	v_addc_co_u32_e32 v9, vcc, v11, v12, vcc
	v_addc_co_u32_e32 v10, vcc, 0, v14, vcc
	v_add_co_u32_e32 v8, vcc, v9, v8
	v_addc_co_u32_e32 v9, vcc, 0, v10, vcc
	v_add_co_u32_e32 v4, vcc, v4, v8
	v_addc_co_u32_e32 v7, vcc, v7, v9, vcc
	v_mul_lo_u32 v8, s0, v7
	v_mul_hi_u32 v9, s0, v4
	v_mul_lo_u32 v10, s1, v4
	v_mul_lo_u32 v11, s0, v4
	v_add_u32_e32 v8, v9, v8
	v_add_u32_e32 v8, v8, v10
	v_mul_lo_u32 v12, v4, v8
	v_mul_hi_u32 v13, v4, v11
	v_mul_hi_u32 v14, v4, v8
	v_mul_hi_u32 v10, v7, v11
	v_mul_lo_u32 v11, v7, v11
	v_mul_hi_u32 v9, v7, v8
	v_add_co_u32_e32 v12, vcc, v13, v12
	v_addc_co_u32_e32 v13, vcc, 0, v14, vcc
	v_mul_lo_u32 v8, v7, v8
	v_add_co_u32_e32 v11, vcc, v12, v11
	v_addc_co_u32_e32 v10, vcc, v13, v10, vcc
	v_addc_co_u32_e32 v9, vcc, 0, v9, vcc
	v_add_co_u32_e32 v8, vcc, v10, v8
	v_addc_co_u32_e32 v9, vcc, 0, v9, vcc
	v_add_co_u32_e32 v4, vcc, v4, v8
	v_addc_co_u32_e32 v9, vcc, v7, v9, vcc
	v_mad_u64_u32 v[7:8], s[0:1], v5, v9, 0
	v_mul_hi_u32 v10, v5, v4
	v_add_co_u32_e32 v11, vcc, v10, v7
	v_addc_co_u32_e32 v12, vcc, 0, v8, vcc
	v_mad_u64_u32 v[7:8], s[0:1], v6, v4, 0
	v_mad_u64_u32 v[9:10], s[0:1], v6, v9, 0
	v_add_co_u32_e32 v4, vcc, v11, v7
	v_addc_co_u32_e32 v4, vcc, v12, v8, vcc
	v_addc_co_u32_e32 v7, vcc, 0, v10, vcc
	v_add_co_u32_e32 v4, vcc, v4, v9
	v_addc_co_u32_e32 v9, vcc, 0, v7, vcc
	v_mul_lo_u32 v10, s25, v4
	v_mul_lo_u32 v11, s24, v9
	v_mad_u64_u32 v[7:8], s[0:1], s24, v4, 0
	v_add3_u32 v8, v8, v11, v10
	v_sub_u32_e32 v10, v6, v8
	v_mov_b32_e32 v11, s25
	v_sub_co_u32_e32 v7, vcc, v5, v7
	v_subb_co_u32_e64 v10, s[0:1], v10, v11, vcc
	v_subrev_co_u32_e64 v11, s[0:1], s24, v7
	v_subbrev_co_u32_e64 v10, s[0:1], 0, v10, s[0:1]
	v_cmp_le_u32_e64 s[0:1], s25, v10
	v_cndmask_b32_e64 v12, 0, -1, s[0:1]
	v_cmp_le_u32_e64 s[0:1], s24, v11
	v_cndmask_b32_e64 v11, 0, -1, s[0:1]
	v_cmp_eq_u32_e64 s[0:1], s25, v10
	v_cndmask_b32_e64 v10, v12, v11, s[0:1]
	v_add_co_u32_e64 v11, s[0:1], 2, v4
	v_addc_co_u32_e64 v12, s[0:1], 0, v9, s[0:1]
	v_add_co_u32_e64 v13, s[0:1], 1, v4
	v_addc_co_u32_e64 v14, s[0:1], 0, v9, s[0:1]
	v_subb_co_u32_e32 v8, vcc, v6, v8, vcc
	v_cmp_ne_u32_e64 s[0:1], 0, v10
	v_cmp_le_u32_e32 vcc, s25, v8
	v_cndmask_b32_e64 v10, v14, v12, s[0:1]
	v_cndmask_b32_e64 v12, 0, -1, vcc
	v_cmp_le_u32_e32 vcc, s24, v7
	v_cndmask_b32_e64 v7, 0, -1, vcc
	v_cmp_eq_u32_e32 vcc, s25, v8
	v_cndmask_b32_e32 v7, v12, v7, vcc
	v_cmp_ne_u32_e32 vcc, 0, v7
	v_cndmask_b32_e64 v7, v13, v11, s[0:1]
	v_cndmask_b32_e32 v111, v9, v10, vcc
	v_cndmask_b32_e32 v110, v4, v7, vcc
.LBB0_4:                                ;   in Loop: Header=BB0_2 Depth=1
	s_andn2_saveexec_b64 s[0:1], s[26:27]
	s_cbranch_execz .LBB0_6
; %bb.5:                                ;   in Loop: Header=BB0_2 Depth=1
	v_cvt_f32_u32_e32 v4, s24
	s_sub_i32 s26, 0, s24
	v_mov_b32_e32 v111, v3
	v_rcp_iflag_f32_e32 v4, v4
	v_mul_f32_e32 v4, 0x4f7ffffe, v4
	v_cvt_u32_f32_e32 v4, v4
	v_mul_lo_u32 v7, s26, v4
	v_mul_hi_u32 v7, v4, v7
	v_add_u32_e32 v4, v4, v7
	v_mul_hi_u32 v4, v5, v4
	v_mul_lo_u32 v7, v4, s24
	v_add_u32_e32 v8, 1, v4
	v_sub_u32_e32 v7, v5, v7
	v_subrev_u32_e32 v9, s24, v7
	v_cmp_le_u32_e32 vcc, s24, v7
	v_cndmask_b32_e32 v7, v7, v9, vcc
	v_cndmask_b32_e32 v4, v4, v8, vcc
	v_add_u32_e32 v8, 1, v4
	v_cmp_le_u32_e32 vcc, s24, v7
	v_cndmask_b32_e32 v110, v4, v8, vcc
.LBB0_6:                                ;   in Loop: Header=BB0_2 Depth=1
	s_or_b64 exec, exec, s[0:1]
	v_mul_lo_u32 v4, v111, s24
	v_mul_lo_u32 v9, v110, s25
	v_mad_u64_u32 v[7:8], s[0:1], v110, s24, 0
	s_load_dwordx2 s[0:1], s[6:7], 0x0
	s_load_dwordx2 s[24:25], s[2:3], 0x0
	v_add3_u32 v4, v8, v9, v4
	v_sub_co_u32_e32 v5, vcc, v5, v7
	v_subb_co_u32_e32 v4, vcc, v6, v4, vcc
	s_waitcnt lgkmcnt(0)
	v_mul_lo_u32 v6, s0, v4
	v_mul_lo_u32 v7, s1, v5
	v_mad_u64_u32 v[1:2], s[0:1], s0, v5, v[1:2]
	v_mul_lo_u32 v4, s24, v4
	v_mul_lo_u32 v8, s25, v5
	v_mad_u64_u32 v[108:109], s[0:1], s24, v5, v[108:109]
	s_add_u32 s22, s22, 1
	s_addc_u32 s23, s23, 0
	s_add_u32 s2, s2, 8
	v_add3_u32 v109, v8, v109, v4
	s_addc_u32 s3, s3, 0
	v_mov_b32_e32 v4, s14
	s_add_u32 s6, s6, 8
	v_mov_b32_e32 v5, s15
	s_addc_u32 s7, s7, 0
	v_cmp_ge_u64_e32 vcc, s[22:23], v[4:5]
	s_add_u32 s20, s20, 8
	v_add3_u32 v2, v7, v2, v6
	s_addc_u32 s21, s21, 0
	s_cbranch_vccnz .LBB0_9
; %bb.7:                                ;   in Loop: Header=BB0_2 Depth=1
	v_mov_b32_e32 v5, v110
	v_mov_b32_e32 v6, v111
	s_branch .LBB0_2
.LBB0_8:
	v_mov_b32_e32 v109, v2
	v_mov_b32_e32 v111, v6
	;; [unrolled: 1-line block ×4, first 2 shown]
.LBB0_9:
	s_load_dwordx2 s[2:3], s[4:5], 0x28
	s_lshl_b64 s[6:7], s[14:15], 3
	s_add_u32 s4, s18, s6
	s_addc_u32 s5, s19, s7
                                        ; implicit-def: $vgpr112
                                        ; implicit-def: $vgpr4_vgpr5
	s_waitcnt lgkmcnt(0)
	v_cmp_gt_u64_e64 s[0:1], s[2:3], v[110:111]
	v_cmp_le_u64_e32 vcc, s[2:3], v[110:111]
	s_and_saveexec_b64 s[2:3], vcc
	s_xor_b64 s[2:3], exec, s[2:3]
; %bb.10:
	s_mov_b32 s14, 0x2828283
	v_mul_hi_u32 v1, v0, s14
	v_mov_b32_e32 v113, 0
	v_mul_u32_u24_e32 v1, 0x66, v1
	v_sub_u32_e32 v112, v0, v1
	v_mov_b32_e32 v4, v112
	v_mov_b32_e32 v5, v113
                                        ; implicit-def: $vgpr0
                                        ; implicit-def: $vgpr1_vgpr2
; %bb.11:
	s_or_saveexec_b64 s[2:3], s[2:3]
	s_load_dwordx2 s[4:5], s[4:5], 0x0
	s_xor_b64 exec, exec, s[2:3]
	s_cbranch_execz .LBB0_15
; %bb.12:
	s_add_u32 s6, s16, s6
	s_addc_u32 s7, s17, s7
	s_load_dwordx2 s[6:7], s[6:7], 0x0
	s_mov_b32 s14, 0x2828283
	v_mul_hi_u32 v5, v0, s14
	v_lshlrev_b64 v[1:2], 4, v[1:2]
	v_mov_b32_e32 v113, 0
	s_waitcnt lgkmcnt(0)
	v_mul_lo_u32 v6, s7, v110
	v_mul_lo_u32 v7, s6, v111
	v_mad_u64_u32 v[3:4], s[6:7], s6, v110, 0
	v_mul_u32_u24_e32 v5, 0x66, v5
	v_sub_u32_e32 v112, v0, v5
	v_add3_u32 v4, v4, v7, v6
	v_lshlrev_b64 v[3:4], 4, v[3:4]
	v_mov_b32_e32 v0, s9
	v_add_co_u32_e32 v3, vcc, s8, v3
	v_addc_co_u32_e32 v0, vcc, v0, v4, vcc
	v_add_co_u32_e32 v1, vcc, v3, v1
	v_addc_co_u32_e32 v0, vcc, v0, v2, vcc
	v_lshlrev_b32_e32 v39, 4, v112
	v_add_co_u32_e32 v33, vcc, v1, v39
	v_addc_co_u32_e32 v34, vcc, 0, v0, vcc
	s_movk_i32 s6, 0x1000
	v_add_co_u32_e32 v26, vcc, s6, v33
	v_addc_co_u32_e32 v27, vcc, 0, v34, vcc
	s_movk_i32 s6, 0x2000
	v_add_co_u32_e32 v35, vcc, s6, v33
	v_addc_co_u32_e32 v36, vcc, 0, v34, vcc
	global_load_dwordx4 v[2:5], v[33:34], off
	global_load_dwordx4 v[6:9], v[33:34], off offset:1632
	global_load_dwordx4 v[10:13], v[33:34], off offset:3264
	;; [unrolled: 1-line block ×5, first 2 shown]
	v_add_co_u32_e32 v37, vcc, 0x3000, v33
	global_load_dwordx4 v[26:29], v[35:36], off offset:1600
	global_load_dwordx4 v[30:33], v[35:36], off offset:3232
	v_addc_co_u32_e32 v38, vcc, 0, v34, vcc
	global_load_dwordx4 v[34:37], v[37:38], off offset:768
	v_add_u32_e32 v38, 0, v39
	s_movk_i32 s6, 0x65
	v_cmp_eq_u32_e32 vcc, s6, v112
	s_waitcnt vmcnt(8)
	ds_write_b128 v38, v[2:5]
	s_waitcnt vmcnt(7)
	ds_write_b128 v38, v[6:9] offset:1632
	s_waitcnt vmcnt(6)
	ds_write_b128 v38, v[10:13] offset:3264
	;; [unrolled: 2-line block ×8, first 2 shown]
	v_mov_b32_e32 v4, v112
	v_mov_b32_e32 v5, v113
	s_and_saveexec_b64 s[6:7], vcc
	s_cbranch_execz .LBB0_14
; %bb.13:
	v_add_co_u32_e32 v1, vcc, 0x3000, v1
	v_addc_co_u32_e32 v2, vcc, 0, v0, vcc
	global_load_dwordx4 v[0:3], v[1:2], off offset:2400
	v_mov_b32_e32 v4, 0x65
	v_mov_b32_e32 v5, 0
	;; [unrolled: 1-line block ×3, first 2 shown]
	s_waitcnt vmcnt(0)
	ds_write_b128 v113, v[0:3] offset:14688
.LBB0_14:
	s_or_b64 exec, exec, s[6:7]
.LBB0_15:
	s_or_b64 exec, exec, s[2:3]
	v_lshlrev_b32_e32 v0, 4, v112
	v_add_u32_e32 v182, 0, v0
	s_waitcnt lgkmcnt(0)
	s_barrier
	v_sub_u32_e32 v10, 0, v0
	ds_read_b64 v[6:7], v182
	ds_read_b64 v[8:9], v10 offset:14688
	s_add_u32 s6, s12, 0x3850
	v_lshlrev_b64 v[114:115], 4, v[4:5]
	s_addc_u32 s7, s13, 0
	v_cmp_ne_u32_e32 vcc, 0, v112
	s_waitcnt lgkmcnt(0)
	v_add_f64 v[0:1], v[6:7], v[8:9]
	v_add_f64 v[2:3], v[6:7], -v[8:9]
	s_and_saveexec_b64 s[2:3], vcc
	s_xor_b64 s[2:3], exec, s[2:3]
	s_cbranch_execz .LBB0_17
; %bb.16:
	v_mov_b32_e32 v1, s7
	v_add_co_u32_e32 v0, vcc, s6, v114
	v_addc_co_u32_e32 v1, vcc, v1, v115, vcc
	global_load_dwordx4 v[2:5], v[0:1], off
	ds_read_b64 v[0:1], v10 offset:14696
	ds_read_b64 v[11:12], v182 offset:8
	v_add_f64 v[13:14], v[6:7], v[8:9]
	v_add_f64 v[8:9], v[6:7], -v[8:9]
	s_waitcnt lgkmcnt(0)
	v_add_f64 v[6:7], v[0:1], v[11:12]
	v_add_f64 v[0:1], v[11:12], -v[0:1]
	s_waitcnt vmcnt(0)
	v_fma_f64 v[11:12], v[8:9], v[4:5], v[13:14]
	v_fma_f64 v[13:14], -v[8:9], v[4:5], v[13:14]
	v_fma_f64 v[15:16], v[6:7], v[4:5], -v[0:1]
	v_fma_f64 v[17:18], v[6:7], v[4:5], v[0:1]
	v_fma_f64 v[0:1], -v[6:7], v[2:3], v[11:12]
	v_fma_f64 v[4:5], v[6:7], v[2:3], v[13:14]
	v_fma_f64 v[6:7], v[8:9], v[2:3], v[15:16]
	;; [unrolled: 1-line block ×3, first 2 shown]
	ds_write_b128 v10, v[4:7] offset:14688
.LBB0_17:
	s_andn2_saveexec_b64 s[2:3], s[2:3]
	s_cbranch_execz .LBB0_19
; %bb.18:
	v_mov_b32_e32 v8, 0
	ds_read_b128 v[4:7], v8 offset:7344
	s_waitcnt lgkmcnt(0)
	v_add_f64 v[4:5], v[4:5], v[4:5]
	v_mul_f64 v[6:7], v[6:7], -2.0
	ds_write_b128 v8, v[4:7] offset:7344
.LBB0_19:
	s_or_b64 exec, exec, s[2:3]
	v_mov_b32_e32 v113, 0
	v_lshlrev_b64 v[116:117], 4, v[112:113]
	v_mov_b32_e32 v4, s7
	v_add_co_u32_e32 v8, vcc, s6, v116
	v_addc_co_u32_e32 v9, vcc, v4, v117, vcc
	global_load_dwordx4 v[4:7], v[8:9], off offset:1632
	global_load_dwordx4 v[11:14], v[8:9], off offset:3264
	s_movk_i32 s2, 0x1000
	ds_write_b128 v182, v[0:3]
	v_add_co_u32_e32 v0, vcc, s2, v8
	v_addc_co_u32_e32 v1, vcc, 0, v9, vcc
	ds_read_b128 v[15:18], v182 offset:1632
	ds_read_b128 v[19:22], v10 offset:13056
	global_load_dwordx4 v[23:26], v[0:1], off offset:800
	v_cmp_gt_u32_e32 vcc, 51, v112
	s_waitcnt lgkmcnt(0)
	v_add_f64 v[2:3], v[15:16], v[19:20]
	v_add_f64 v[27:28], v[21:22], v[17:18]
	v_add_f64 v[15:16], v[15:16], -v[19:20]
	v_add_f64 v[8:9], v[17:18], -v[21:22]
	s_waitcnt vmcnt(2)
	v_fma_f64 v[17:18], v[15:16], v[6:7], v[2:3]
	v_fma_f64 v[19:20], v[27:28], v[6:7], v[8:9]
	v_fma_f64 v[2:3], -v[15:16], v[6:7], v[2:3]
	v_fma_f64 v[21:22], v[27:28], v[6:7], -v[8:9]
	v_fma_f64 v[6:7], -v[27:28], v[4:5], v[17:18]
	v_fma_f64 v[8:9], v[15:16], v[4:5], v[19:20]
	v_fma_f64 v[2:3], v[27:28], v[4:5], v[2:3]
	;; [unrolled: 1-line block ×3, first 2 shown]
	ds_write_b128 v182, v[6:9] offset:1632
	ds_write_b128 v10, v[2:5] offset:13056
	ds_read_b128 v[2:5], v182 offset:3264
	ds_read_b128 v[6:9], v10 offset:11424
	s_waitcnt lgkmcnt(0)
	v_add_f64 v[15:16], v[2:3], v[6:7]
	v_add_f64 v[17:18], v[8:9], v[4:5]
	v_add_f64 v[19:20], v[2:3], -v[6:7]
	v_add_f64 v[2:3], v[4:5], -v[8:9]
	s_waitcnt vmcnt(1)
	v_fma_f64 v[4:5], v[19:20], v[13:14], v[15:16]
	v_fma_f64 v[6:7], v[17:18], v[13:14], v[2:3]
	v_fma_f64 v[8:9], -v[19:20], v[13:14], v[15:16]
	v_fma_f64 v[13:14], v[17:18], v[13:14], -v[2:3]
	v_fma_f64 v[2:3], -v[17:18], v[11:12], v[4:5]
	v_fma_f64 v[4:5], v[19:20], v[11:12], v[6:7]
	v_fma_f64 v[6:7], v[17:18], v[11:12], v[8:9]
	;; [unrolled: 1-line block ×3, first 2 shown]
	ds_write_b128 v182, v[2:5] offset:3264
	ds_write_b128 v10, v[6:9] offset:11424
	ds_read_b128 v[2:5], v182 offset:4896
	ds_read_b128 v[6:9], v10 offset:9792
	s_waitcnt lgkmcnt(0)
	v_add_f64 v[11:12], v[2:3], v[6:7]
	v_add_f64 v[13:14], v[8:9], v[4:5]
	v_add_f64 v[15:16], v[2:3], -v[6:7]
	v_add_f64 v[2:3], v[4:5], -v[8:9]
	s_waitcnt vmcnt(0)
	v_fma_f64 v[4:5], v[15:16], v[25:26], v[11:12]
	v_fma_f64 v[6:7], v[13:14], v[25:26], v[2:3]
	v_fma_f64 v[8:9], -v[15:16], v[25:26], v[11:12]
	v_fma_f64 v[11:12], v[13:14], v[25:26], -v[2:3]
	v_fma_f64 v[2:3], -v[13:14], v[23:24], v[4:5]
	v_fma_f64 v[4:5], v[15:16], v[23:24], v[6:7]
	v_fma_f64 v[6:7], v[13:14], v[23:24], v[8:9]
	;; [unrolled: 1-line block ×3, first 2 shown]
	ds_write_b128 v182, v[2:5] offset:4896
	ds_write_b128 v10, v[6:9] offset:9792
	s_and_saveexec_b64 s[2:3], vcc
	s_cbranch_execz .LBB0_21
; %bb.20:
	global_load_dwordx4 v[0:3], v[0:1], off offset:2432
	ds_read_b128 v[4:7], v182 offset:6528
	ds_read_b128 v[11:14], v10 offset:8160
	s_waitcnt lgkmcnt(0)
	v_add_f64 v[8:9], v[4:5], v[11:12]
	v_add_f64 v[15:16], v[13:14], v[6:7]
	v_add_f64 v[11:12], v[4:5], -v[11:12]
	v_add_f64 v[4:5], v[6:7], -v[13:14]
	s_waitcnt vmcnt(0)
	v_fma_f64 v[6:7], v[11:12], v[2:3], v[8:9]
	v_fma_f64 v[13:14], v[15:16], v[2:3], v[4:5]
	v_fma_f64 v[8:9], -v[11:12], v[2:3], v[8:9]
	v_fma_f64 v[17:18], v[15:16], v[2:3], -v[4:5]
	v_fma_f64 v[2:3], -v[15:16], v[0:1], v[6:7]
	v_fma_f64 v[4:5], v[11:12], v[0:1], v[13:14]
	v_fma_f64 v[6:7], v[15:16], v[0:1], v[8:9]
	v_fma_f64 v[8:9], v[11:12], v[0:1], v[17:18]
	ds_write_b128 v182, v[2:5] offset:6528
	ds_write_b128 v10, v[6:9] offset:8160
.LBB0_21:
	s_or_b64 exec, exec, s[2:3]
	s_waitcnt lgkmcnt(0)
	s_barrier
	s_barrier
	ds_read_b128 v[4:7], v182 offset:13824
	ds_read_b128 v[20:23], v182 offset:864
	ds_read_b128 v[16:19], v182
	ds_read_b128 v[8:11], v182 offset:12960
	ds_read_b128 v[28:31], v182 offset:1728
	s_mov_b32 s8, 0xacd6c6b4
	s_waitcnt lgkmcnt(3)
	v_add_f64 v[120:121], v[22:23], -v[6:7]
	v_add_f64 v[122:123], v[22:23], v[6:7]
	s_mov_b32 s9, 0xbfc7851a
	v_add_f64 v[118:119], v[20:21], v[4:5]
	s_waitcnt lgkmcnt(0)
	v_add_f64 v[128:129], v[30:31], -v[10:11]
	s_mov_b32 s6, 0x7faef3
	s_mov_b32 s7, 0xbfef7484
	ds_read_b128 v[32:35], v182 offset:2592
	ds_read_b128 v[12:15], v182 offset:12096
	v_mul_f64 v[72:73], v[120:121], s[8:9]
	v_add_f64 v[160:161], v[20:21], -v[4:5]
	v_mul_f64 v[80:81], v[122:123], s[6:7]
	v_add_f64 v[126:127], v[30:31], v[10:11]
	s_mov_b32 s38, 0x5d8e7cdc
	s_mov_b32 s39, 0x3fd71e95
	v_add_f64 v[124:125], v[28:29], v[8:9]
	v_mul_f64 v[74:75], v[128:129], s[38:39]
	v_fma_f64 v[0:1], v[118:119], s[6:7], -v[72:73]
	s_waitcnt lgkmcnt(0)
	v_add_f64 v[130:131], v[34:35], -v[14:15]
	s_mov_b32 s16, 0x370991
	s_mov_b32 s17, 0x3fedd6d0
	v_fma_f64 v[2:3], v[160:161], s[8:9], v[80:81]
	v_add_f64 v[162:163], v[28:29], -v[8:9]
	v_mul_f64 v[82:83], v[126:127], s[16:17]
	ds_read_b128 v[24:27], v182 offset:11232
	ds_read_b128 v[40:43], v182 offset:3456
	s_mov_b32 s18, 0x4363dd80
	s_mov_b32 s19, 0xbfe0d888
	v_add_f64 v[0:1], v[16:17], v[0:1]
	v_fma_f64 v[36:37], v[124:125], s[16:17], -v[74:75]
	v_add_f64 v[134:135], v[34:35], v[14:15]
	v_add_f64 v[132:133], v[32:33], v[12:13]
	v_mul_f64 v[76:77], v[130:131], s[18:19]
	s_waitcnt lgkmcnt(0)
	v_add_f64 v[144:145], v[42:43], -v[26:27]
	v_add_f64 v[2:3], v[18:19], v[2:3]
	v_fma_f64 v[38:39], v[162:163], s[38:39], v[82:83]
	s_mov_b32 s14, 0x910ea3b9
	s_mov_b32 s44, 0x2a9d6da3
	;; [unrolled: 1-line block ×4, first 2 shown]
	v_add_f64 v[146:147], v[32:33], -v[12:13]
	v_mul_f64 v[78:79], v[134:135], s[14:15]
	v_add_f64 v[0:1], v[36:37], v[0:1]
	v_fma_f64 v[48:49], v[132:133], s[14:15], -v[76:77]
	v_add_f64 v[138:139], v[42:43], v[26:27]
	v_add_f64 v[136:137], v[40:41], v[24:25]
	v_mul_f64 v[86:87], v[144:145], s[44:45]
	v_add_f64 v[2:3], v[38:39], v[2:3]
	ds_read_b128 v[44:47], v182 offset:4320
	ds_read_b128 v[36:39], v182 offset:10368
	s_mov_b32 s22, 0x75d4884
	s_mov_b32 s23, 0x3fe7a5f6
	v_fma_f64 v[50:51], v[146:147], s[18:19], v[78:79]
	v_add_f64 v[154:155], v[40:41], -v[24:25]
	v_mul_f64 v[88:89], v[138:139], s[22:23]
	v_add_f64 v[0:1], v[48:49], v[0:1]
	s_waitcnt lgkmcnt(0)
	v_add_f64 v[148:149], v[46:47], -v[38:39]
	v_fma_f64 v[48:49], v[136:137], s[22:23], -v[86:87]
	v_add_f64 v[142:143], v[46:47], v[38:39]
	s_mov_b32 s26, 0x6c9a05f6
	s_mov_b32 s20, 0x6ed5f1bb
	;; [unrolled: 1-line block ×4, first 2 shown]
	v_add_f64 v[2:3], v[50:51], v[2:3]
	v_fma_f64 v[52:53], v[154:155], s[44:45], v[88:89]
	v_add_f64 v[140:141], v[44:45], v[36:37]
	v_mul_f64 v[84:85], v[148:149], s[26:27]
	v_add_f64 v[164:165], v[44:45], -v[36:37]
	v_mul_f64 v[90:91], v[142:143], s[20:21]
	v_add_f64 v[0:1], v[48:49], v[0:1]
	ds_read_b128 v[48:51], v182 offset:9504
	ds_read_b128 v[56:59], v182 offset:5184
	s_mov_b32 s28, 0x2b2883cd
	v_add_f64 v[2:3], v[52:53], v[2:3]
	ds_read_b128 v[60:63], v182 offset:6048
	ds_read_b128 v[52:55], v182 offset:8640
	v_fma_f64 v[64:65], v[140:141], s[20:21], -v[84:85]
	s_waitcnt lgkmcnt(2)
	v_add_f64 v[170:171], v[58:59], -v[50:51]
	v_add_f64 v[152:153], v[58:59], v[50:51]
	v_fma_f64 v[66:67], v[164:165], s[26:27], v[90:91]
	s_mov_b32 s42, 0x7c9e640b
	s_mov_b32 s29, 0x3fdc86fa
	;; [unrolled: 1-line block ×3, first 2 shown]
	v_add_f64 v[150:151], v[56:57], v[48:49]
	v_add_f64 v[174:175], v[56:57], -v[48:49]
	v_mul_f64 v[92:93], v[170:171], s[42:43]
	v_mul_f64 v[94:95], v[152:153], s[28:29]
	s_waitcnt lgkmcnt(0)
	v_add_f64 v[172:173], v[62:63], -v[54:55]
	v_add_f64 v[158:159], v[62:63], v[54:55]
	v_add_f64 v[0:1], v[64:65], v[0:1]
	;; [unrolled: 1-line block ×3, first 2 shown]
	ds_read_b128 v[68:71], v182 offset:6912
	ds_read_b128 v[64:67], v182 offset:7776
	s_mov_b32 s30, 0xc61f0d01
	s_mov_b32 s34, 0x923c349f
	;; [unrolled: 1-line block ×4, first 2 shown]
	v_fma_f64 v[100:101], v[150:151], s[28:29], -v[92:93]
	v_fma_f64 v[102:103], v[174:175], s[42:43], v[94:95]
	v_add_f64 v[156:157], v[60:61], v[52:53]
	v_mul_f64 v[96:97], v[172:173], s[34:35]
	v_add_f64 v[176:177], v[60:61], -v[52:53]
	v_mul_f64 v[98:99], v[158:159], s[30:31]
	s_waitcnt lgkmcnt(0)
	v_add_f64 v[178:179], v[70:71], -v[66:67]
	v_add_f64 v[166:167], v[70:71], v[66:67]
	s_mov_b32 s36, 0x3259b75e
	s_mov_b32 s54, 0xeb564b22
	;; [unrolled: 1-line block ×4, first 2 shown]
	v_add_f64 v[0:1], v[100:101], v[0:1]
	v_add_f64 v[2:3], v[102:103], v[2:3]
	v_fma_f64 v[104:105], v[156:157], s[30:31], -v[96:97]
	v_fma_f64 v[106:107], v[176:177], s[34:35], v[98:99]
	v_add_f64 v[168:169], v[68:69], v[64:65]
	v_mul_f64 v[100:101], v[178:179], s[54:55]
	v_add_f64 v[180:181], v[68:69], -v[64:65]
	v_mul_f64 v[102:103], v[166:167], s[36:37]
	v_cmp_gt_u32_e64 s[2:3], 54, v112
	v_add_f64 v[0:1], v[104:105], v[0:1]
	v_add_f64 v[2:3], v[106:107], v[2:3]
	s_barrier
	v_fma_f64 v[104:105], v[168:169], s[36:37], -v[100:101]
	v_fma_f64 v[106:107], v[180:181], s[54:55], v[102:103]
	v_add_f64 v[0:1], v[104:105], v[0:1]
	v_add_f64 v[2:3], v[106:107], v[2:3]
	s_and_saveexec_b64 s[24:25], s[2:3]
	s_cbranch_execz .LBB0_23
; %bb.22:
	v_mul_f64 v[104:105], v[160:161], s[8:9]
	v_mul_f64 v[106:107], v[118:119], s[6:7]
	;; [unrolled: 1-line block ×8, first 2 shown]
	v_add_f64 v[80:81], v[80:81], -v[104:105]
	v_add_f64 v[72:73], v[106:107], v[72:73]
	v_add_f64 v[82:83], v[82:83], -v[185:186]
	v_add_f64 v[74:75], v[183:184], v[74:75]
	v_add_f64 v[78:79], v[78:79], -v[189:190]
	v_mul_f64 v[195:196], v[164:165], s[26:27]
	v_add_f64 v[88:89], v[88:89], -v[193:194]
	v_add_f64 v[76:77], v[187:188], v[76:77]
	v_add_f64 v[80:81], v[18:19], v[80:81]
	;; [unrolled: 1-line block ×3, first 2 shown]
	v_mul_f64 v[104:105], v[140:141], s[20:21]
	v_mul_f64 v[199:200], v[174:175], s[42:43]
	;; [unrolled: 1-line block ×6, first 2 shown]
	v_add_f64 v[80:81], v[82:83], v[80:81]
	v_add_f64 v[72:73], v[74:75], v[72:73]
	;; [unrolled: 1-line block ×3, first 2 shown]
	v_add_f64 v[94:95], v[94:95], -v[199:200]
	v_add_f64 v[92:93], v[197:198], v[92:93]
	s_mov_b32 s41, 0xbfefdd0d
	v_add_f64 v[98:99], v[98:99], -v[106:107]
	s_mov_b32 s40, s54
	v_add_f64 v[74:75], v[78:79], v[80:81]
	v_add_f64 v[78:79], v[90:91], -v[195:196]
	v_add_f64 v[80:81], v[191:192], v[86:87]
	v_add_f64 v[72:73], v[76:77], v[72:73]
	v_mul_f64 v[86:87], v[160:161], s[18:19]
	v_mul_f64 v[76:77], v[162:163], s[42:43]
	;; [unrolled: 1-line block ×4, first 2 shown]
	v_add_f64 v[74:75], v[88:89], v[74:75]
	v_mul_f64 v[88:89], v[128:129], s[42:43]
	v_add_f64 v[102:103], v[102:103], -v[203:204]
	v_add_f64 v[72:73], v[80:81], v[72:73]
	s_mov_b32 s53, 0x3fe9895b
	s_mov_b32 s52, s26
	v_mul_f64 v[80:81], v[154:155], s[52:53]
	s_mov_b32 s3, 0xbfd71e95
	v_add_f64 v[74:75], v[78:79], v[74:75]
	s_mov_b32 s2, s38
	v_mul_f64 v[78:79], v[164:165], s[2:3]
	v_add_f64 v[72:73], v[84:85], v[72:73]
	v_mul_f64 v[185:186], v[168:169], s[36:37]
	v_mul_f64 v[183:184], v[174:175], s[8:9]
	v_fma_f64 v[189:190], v[138:139], s[20:21], v[80:81]
	v_mul_f64 v[82:83], v[176:177], s[44:45]
	v_add_f64 v[74:75], v[94:95], v[74:75]
	v_add_f64 v[94:95], v[201:202], v[96:97]
	v_fma_f64 v[96:97], v[122:123], s[14:15], v[86:87]
	v_add_f64 v[72:73], v[92:93], v[72:73]
	v_fma_f64 v[92:93], v[126:127], s[28:29], v[76:77]
	v_fma_f64 v[86:87], v[122:123], s[14:15], -v[86:87]
	v_fma_f64 v[76:77], v[126:127], s[28:29], -v[76:77]
	v_fma_f64 v[187:188], v[142:143], s[16:17], v[78:79]
	v_add_f64 v[74:75], v[98:99], v[74:75]
	v_fma_f64 v[98:99], v[118:119], s[14:15], -v[90:91]
	v_add_f64 v[96:97], v[18:19], v[96:97]
	v_add_f64 v[72:73], v[94:95], v[72:73]
	v_fma_f64 v[94:95], v[134:135], s[36:37], v[104:105]
	v_fma_f64 v[90:91], v[118:119], s[14:15], v[90:91]
	v_add_f64 v[86:87], v[18:19], v[86:87]
	v_add_f64 v[84:85], v[185:186], v[100:101]
	;; [unrolled: 1-line block ×3, first 2 shown]
	v_fma_f64 v[102:103], v[124:125], s[28:29], -v[88:89]
	v_add_f64 v[92:93], v[92:93], v[96:97]
	v_mul_f64 v[96:97], v[130:131], s[40:41]
	v_add_f64 v[98:99], v[16:17], v[98:99]
	v_fma_f64 v[88:89], v[124:125], s[28:29], v[88:89]
	v_add_f64 v[90:91], v[16:17], v[90:91]
	v_add_f64 v[76:77], v[76:77], v[86:87]
	v_fma_f64 v[185:186], v[152:153], s[6:7], v[183:184]
	v_fma_f64 v[80:81], v[138:139], s[20:21], -v[80:81]
	v_add_f64 v[92:93], v[94:95], v[92:93]
	v_mul_f64 v[94:95], v[144:145], s[52:53]
	v_fma_f64 v[191:192], v[132:133], s[36:37], -v[96:97]
	v_add_f64 v[98:99], v[102:103], v[98:99]
	v_fma_f64 v[102:103], v[134:135], s[36:37], -v[104:105]
	v_fma_f64 v[86:87], v[132:133], s[36:37], v[96:97]
	v_add_f64 v[88:89], v[88:89], v[90:91]
	v_mul_f64 v[205:206], v[180:181], s[34:35]
	v_add_f64 v[90:91], v[189:190], v[92:93]
	v_mul_f64 v[92:93], v[148:149], s[2:3]
	v_fma_f64 v[96:97], v[136:137], s[20:21], -v[94:95]
	v_add_f64 v[98:99], v[191:192], v[98:99]
	v_add_f64 v[76:77], v[102:103], v[76:77]
	v_fma_f64 v[94:95], v[136:137], s[20:21], v[94:95]
	v_add_f64 v[86:87], v[86:87], v[88:89]
	v_fma_f64 v[106:107], v[158:159], s[22:23], v[82:83]
	v_add_f64 v[88:89], v[187:188], v[90:91]
	v_mul_f64 v[90:91], v[170:171], s[8:9]
	v_fma_f64 v[102:103], v[140:141], s[16:17], -v[92:93]
	v_add_f64 v[96:97], v[96:97], v[98:99]
	v_fma_f64 v[78:79], v[142:143], s[16:17], -v[78:79]
	v_add_f64 v[76:77], v[80:81], v[76:77]
	v_fma_f64 v[80:81], v[140:141], s[16:17], v[92:93]
	v_add_f64 v[86:87], v[94:95], v[86:87]
	v_add_f64 v[88:89], v[185:186], v[88:89]
	v_mul_f64 v[92:93], v[172:173], s[44:45]
	v_fma_f64 v[94:95], v[150:151], s[6:7], -v[90:91]
	v_add_f64 v[96:97], v[102:103], v[96:97]
	v_fma_f64 v[100:101], v[166:167], s[30:31], v[205:206]
	v_add_f64 v[76:77], v[78:79], v[76:77]
	v_fma_f64 v[78:79], v[150:151], s[6:7], v[90:91]
	v_add_f64 v[80:81], v[80:81], v[86:87]
	v_add_f64 v[86:87], v[106:107], v[88:89]
	v_fma_f64 v[90:91], v[156:157], s[22:23], -v[92:93]
	s_mov_b32 s51, 0x3feec746
	v_add_f64 v[94:95], v[94:95], v[96:97]
	s_mov_b32 s50, s34
	v_mul_f64 v[102:103], v[162:163], s[50:51]
	v_mul_f64 v[185:186], v[146:147], s[2:3]
	v_add_f64 v[80:81], v[78:79], v[80:81]
	v_add_f64 v[78:79], v[100:101], v[86:87]
	v_mul_f64 v[100:101], v[120:121], s[26:27]
	v_fma_f64 v[98:99], v[152:153], s[6:7], -v[183:184]
	v_add_f64 v[86:87], v[90:91], v[94:95]
	v_mul_f64 v[94:95], v[160:161], s[26:27]
	v_fma_f64 v[193:194], v[126:127], s[30:31], v[102:103]
	v_mul_f64 v[189:190], v[128:129], s[50:51]
	v_mul_f64 v[195:196], v[154:155], s[18:19]
	v_fma_f64 v[197:198], v[134:135], s[16:17], v[185:186]
	v_fma_f64 v[191:192], v[118:119], s[20:21], -v[100:101]
	v_fma_f64 v[102:103], v[126:127], s[30:31], -v[102:103]
	v_fma_f64 v[100:101], v[118:119], s[20:21], v[100:101]
	v_fma_f64 v[106:107], v[122:123], s[20:21], v[94:95]
	v_fma_f64 v[94:95], v[122:123], s[20:21], -v[94:95]
	v_add_f64 v[76:77], v[98:99], v[76:77]
	v_mul_f64 v[98:99], v[164:165], s[54:55]
	v_mul_f64 v[199:200], v[130:131], s[2:3]
	v_fma_f64 v[201:202], v[124:125], s[30:31], -v[189:190]
	v_add_f64 v[191:192], v[16:17], v[191:192]
	v_fma_f64 v[185:186], v[134:135], s[16:17], -v[185:186]
	v_add_f64 v[106:107], v[18:19], v[106:107]
	v_add_f64 v[94:95], v[18:19], v[94:95]
	v_fma_f64 v[189:190], v[124:125], s[30:31], v[189:190]
	v_add_f64 v[100:101], v[16:17], v[100:101]
	s_mov_b32 s47, 0xbfe58eea
	s_mov_b32 s46, s44
	v_fma_f64 v[92:93], v[156:157], s[22:23], v[92:93]
	v_fma_f64 v[90:91], v[166:167], s[30:31], -v[205:206]
	v_add_f64 v[106:107], v[193:194], v[106:107]
	v_fma_f64 v[193:194], v[138:139], s[14:15], v[195:196]
	v_add_f64 v[94:95], v[102:103], v[94:95]
	v_mul_f64 v[96:97], v[174:175], s[46:47]
	v_fma_f64 v[187:188], v[142:143], s[36:37], v[98:99]
	v_mul_f64 v[203:204], v[144:145], s[18:19]
	v_fma_f64 v[205:206], v[132:133], s[16:17], -v[199:200]
	v_add_f64 v[191:192], v[201:202], v[191:192]
	v_add_f64 v[102:103], v[197:198], v[106:107]
	v_fma_f64 v[195:196], v[138:139], s[14:15], -v[195:196]
	v_add_f64 v[94:95], v[185:186], v[94:95]
	v_add_f64 v[100:101], v[189:190], v[100:101]
	;; [unrolled: 1-line block ×3, first 2 shown]
	v_mul_f64 v[92:93], v[176:177], s[8:9]
	v_fma_f64 v[183:184], v[152:153], s[22:23], v[96:97]
	v_mul_f64 v[106:107], v[148:149], s[54:55]
	v_add_f64 v[102:103], v[193:194], v[102:103]
	v_fma_f64 v[193:194], v[132:133], s[16:17], v[199:200]
	v_fma_f64 v[197:198], v[136:137], s[14:15], -v[203:204]
	v_add_f64 v[191:192], v[205:206], v[191:192]
	v_fma_f64 v[98:99], v[142:143], s[36:37], -v[98:99]
	v_add_f64 v[94:95], v[195:196], v[94:95]
	v_fma_f64 v[195:196], v[136:137], s[14:15], v[203:204]
	v_fma_f64 v[82:83], v[158:159], s[22:23], -v[82:83]
	v_add_f64 v[102:103], v[187:188], v[102:103]
	v_add_f64 v[100:101], v[193:194], v[100:101]
	v_fma_f64 v[104:105], v[158:159], s[6:7], v[92:93]
	v_mul_f64 v[185:186], v[170:171], s[46:47]
	v_fma_f64 v[189:190], v[140:141], s[36:37], -v[106:107]
	v_add_f64 v[191:192], v[197:198], v[191:192]
	v_fma_f64 v[96:97], v[152:153], s[22:23], -v[96:97]
	v_add_f64 v[94:95], v[98:99], v[94:95]
	v_add_f64 v[98:99], v[183:184], v[102:103]
	v_fma_f64 v[106:107], v[140:141], s[36:37], v[106:107]
	v_add_f64 v[100:101], v[195:196], v[100:101]
	v_mul_f64 v[88:89], v[178:179], s[34:35]
	v_add_f64 v[82:83], v[82:83], v[76:77]
	v_mul_f64 v[76:77], v[180:181], s[42:43]
	v_mul_f64 v[187:188], v[172:173], s[8:9]
	v_fma_f64 v[193:194], v[150:151], s[22:23], -v[185:186]
	v_add_f64 v[189:190], v[189:190], v[191:192]
	v_fma_f64 v[92:93], v[158:159], s[6:7], -v[92:93]
	v_add_f64 v[94:95], v[96:97], v[94:95]
	v_add_f64 v[98:99], v[104:105], v[98:99]
	v_fma_f64 v[104:105], v[150:151], s[22:23], v[185:186]
	v_add_f64 v[100:101], v[106:107], v[100:101]
	v_add_f64 v[72:73], v[84:85], v[72:73]
	v_fma_f64 v[84:85], v[168:169], s[30:31], -v[88:89]
	v_mul_f64 v[102:103], v[178:179], s[42:43]
	v_fma_f64 v[183:184], v[156:157], s[6:7], -v[187:188]
	v_add_f64 v[189:190], v[193:194], v[189:190]
	v_fma_f64 v[96:97], v[166:167], s[28:29], v[76:77]
	v_add_f64 v[92:93], v[92:93], v[94:95]
	v_fma_f64 v[94:95], v[156:157], s[6:7], v[187:188]
	;; [unrolled: 2-line block ×3, first 2 shown]
	v_fma_f64 v[106:107], v[168:169], s[28:29], -v[102:103]
	v_fma_f64 v[185:186], v[166:167], s[28:29], -v[76:77]
	v_add_f64 v[183:184], v[183:184], v[189:190]
	v_add_f64 v[76:77], v[84:85], v[86:87]
	;; [unrolled: 1-line block ×4, first 2 shown]
	v_mul_f64 v[96:97], v[160:161], s[34:35]
	v_add_f64 v[94:95], v[94:95], v[100:101]
	v_mul_f64 v[100:101], v[120:121], s[34:35]
	s_mov_b32 s57, 0x3fe0d888
	s_mov_b32 s56, s18
	v_add_f64 v[84:85], v[88:89], v[80:81]
	v_add_f64 v[80:81], v[106:107], v[183:184]
	;; [unrolled: 1-line block ×3, first 2 shown]
	v_fma_f64 v[88:89], v[168:169], s[28:29], v[102:103]
	v_mul_f64 v[102:103], v[162:163], s[56:57]
	v_fma_f64 v[106:107], v[122:123], s[30:31], v[96:97]
	v_mul_f64 v[183:184], v[128:129], s[56:57]
	v_fma_f64 v[185:186], v[118:119], s[30:31], -v[100:101]
	v_mul_f64 v[187:188], v[146:147], s[44:45]
	v_fma_f64 v[96:97], v[122:123], s[30:31], -v[96:97]
	v_mul_f64 v[191:192], v[130:131], s[44:45]
	s_mov_b32 s49, 0xbfeca52d
	v_fma_f64 v[189:190], v[126:127], s[14:15], v[102:103]
	v_add_f64 v[106:107], v[18:19], v[106:107]
	v_fma_f64 v[193:194], v[124:125], s[14:15], -v[183:184]
	v_add_f64 v[185:186], v[16:17], v[185:186]
	s_mov_b32 s48, s42
	v_mul_f64 v[195:196], v[154:155], s[48:49]
	v_fma_f64 v[197:198], v[134:135], s[22:23], v[187:188]
	v_fma_f64 v[102:103], v[126:127], s[14:15], -v[102:103]
	v_add_f64 v[96:97], v[18:19], v[96:97]
	v_add_f64 v[106:107], v[189:190], v[106:107]
	v_mul_f64 v[189:190], v[144:145], s[48:49]
	v_fma_f64 v[199:200], v[132:133], s[22:23], -v[191:192]
	v_add_f64 v[185:186], v[193:194], v[185:186]
	v_mul_f64 v[193:194], v[164:165], s[8:9]
	v_fma_f64 v[201:202], v[138:139], s[28:29], v[195:196]
	v_fma_f64 v[187:188], v[134:135], s[22:23], -v[187:188]
	v_add_f64 v[96:97], v[102:103], v[96:97]
	v_add_f64 v[102:103], v[197:198], v[106:107]
	v_mul_f64 v[106:107], v[148:149], s[8:9]
	v_fma_f64 v[197:198], v[136:137], s[28:29], -v[189:190]
	v_add_f64 v[185:186], v[199:200], v[185:186]
	;; [unrolled: 8-line block ×3, first 2 shown]
	v_mul_f64 v[92:93], v[176:177], s[2:3]
	v_fma_f64 v[197:198], v[152:153], s[36:37], v[199:200]
	v_fma_f64 v[193:194], v[142:143], s[6:7], -v[193:194]
	v_fma_f64 v[100:101], v[118:119], s[30:31], v[100:101]
	v_add_f64 v[96:97], v[195:196], v[96:97]
	v_add_f64 v[102:103], v[203:204], v[102:103]
	v_mul_f64 v[195:196], v[172:173], s[2:3]
	v_fma_f64 v[203:204], v[150:151], s[36:37], -v[187:188]
	v_add_f64 v[185:186], v[201:202], v[185:186]
	v_mul_f64 v[98:99], v[180:181], s[26:27]
	v_fma_f64 v[104:105], v[158:159], s[16:17], v[92:93]
	v_fma_f64 v[199:200], v[152:153], s[36:37], -v[199:200]
	v_fma_f64 v[183:184], v[124:125], s[14:15], v[183:184]
	v_add_f64 v[100:101], v[16:17], v[100:101]
	v_add_f64 v[96:97], v[193:194], v[96:97]
	;; [unrolled: 1-line block ×3, first 2 shown]
	v_mul_f64 v[193:194], v[178:179], s[26:27]
	v_fma_f64 v[197:198], v[156:157], s[16:17], -v[195:196]
	v_add_f64 v[185:186], v[203:204], v[185:186]
	v_fma_f64 v[92:93], v[158:159], s[16:17], -v[92:93]
	v_fma_f64 v[191:192], v[132:133], s[22:23], v[191:192]
	v_add_f64 v[100:101], v[183:184], v[100:101]
	v_add_f64 v[96:97], v[199:200], v[96:97]
	v_fma_f64 v[183:184], v[166:167], s[20:21], v[98:99]
	v_add_f64 v[102:103], v[104:105], v[102:103]
	v_fma_f64 v[104:105], v[168:169], s[20:21], -v[193:194]
	v_add_f64 v[185:186], v[197:198], v[185:186]
	v_fma_f64 v[189:190], v[136:137], s[28:29], v[189:190]
	v_add_f64 v[88:89], v[88:89], v[94:95]
	v_add_f64 v[100:101], v[191:192], v[100:101]
	;; [unrolled: 1-line block ×3, first 2 shown]
	v_fma_f64 v[98:99], v[166:167], s[20:21], -v[98:99]
	v_add_f64 v[94:95], v[183:184], v[102:103]
	v_mul_f64 v[102:103], v[160:161], s[40:41]
	v_add_f64 v[92:93], v[104:105], v[185:186]
	v_fma_f64 v[104:105], v[140:141], s[6:7], v[106:107]
	v_mul_f64 v[106:107], v[120:121], s[40:41]
	v_add_f64 v[100:101], v[189:190], v[100:101]
	v_mul_f64 v[183:184], v[162:163], s[8:9]
	v_mul_f64 v[189:190], v[128:129], s[8:9]
	v_add_f64 v[98:99], v[98:99], v[96:97]
	v_fma_f64 v[185:186], v[122:123], s[36:37], v[102:103]
	v_fma_f64 v[96:97], v[168:169], s[20:21], v[193:194]
	;; [unrolled: 1-line block ×3, first 2 shown]
	v_fma_f64 v[191:192], v[118:119], s[36:37], -v[106:107]
	v_add_f64 v[100:101], v[104:105], v[100:101]
	v_fma_f64 v[104:105], v[156:157], s[16:17], v[195:196]
	v_mul_f64 v[193:194], v[146:147], s[50:51]
	v_fma_f64 v[195:196], v[126:127], s[6:7], v[183:184]
	v_add_f64 v[185:186], v[18:19], v[185:186]
	v_mul_f64 v[197:198], v[130:131], s[50:51]
	v_fma_f64 v[199:200], v[124:125], s[6:7], -v[189:190]
	v_add_f64 v[191:192], v[16:17], v[191:192]
	v_add_f64 v[100:101], v[187:188], v[100:101]
	v_fma_f64 v[102:103], v[122:123], s[36:37], -v[102:103]
	v_mul_f64 v[187:188], v[154:155], s[38:39]
	v_fma_f64 v[201:202], v[134:135], s[30:31], v[193:194]
	v_add_f64 v[185:186], v[195:196], v[185:186]
	v_mul_f64 v[195:196], v[144:145], s[38:39]
	v_fma_f64 v[203:204], v[132:133], s[30:31], -v[197:198]
	v_add_f64 v[191:192], v[199:200], v[191:192]
	v_fma_f64 v[183:184], v[126:127], s[6:7], -v[183:184]
	v_add_f64 v[102:103], v[18:19], v[102:103]
	v_mul_f64 v[199:200], v[164:165], s[48:49]
	v_fma_f64 v[205:206], v[138:139], s[16:17], v[187:188]
	v_add_f64 v[185:186], v[201:202], v[185:186]
	v_mul_f64 v[201:202], v[148:149], s[48:49]
	v_fma_f64 v[207:208], v[136:137], s[16:17], -v[195:196]
	v_add_f64 v[191:192], v[203:204], v[191:192]
	v_fma_f64 v[193:194], v[134:135], s[30:31], -v[193:194]
	v_add_f64 v[102:103], v[183:184], v[102:103]
	;; [unrolled: 8-line block ×5, first 2 shown]
	v_add_f64 v[100:101], v[104:105], v[100:101]
	v_fma_f64 v[104:105], v[166:167], s[22:23], v[187:188]
	v_add_f64 v[185:186], v[209:210], v[185:186]
	v_fma_f64 v[106:107], v[118:119], s[36:37], v[106:107]
	v_fma_f64 v[199:200], v[168:169], s[22:23], -v[207:208]
	v_add_f64 v[191:192], v[213:214], v[191:192]
	v_mul_f64 v[209:210], v[160:161], s[48:49]
	v_fma_f64 v[193:194], v[158:159], s[20:21], -v[193:194]
	v_add_f64 v[183:184], v[183:184], v[102:103]
	v_add_f64 v[96:97], v[96:97], v[100:101]
	v_fma_f64 v[189:190], v[124:125], s[6:7], v[189:190]
	v_add_f64 v[106:107], v[16:17], v[106:107]
	v_add_f64 v[102:103], v[104:105], v[185:186]
	;; [unrolled: 1-line block ×3, first 2 shown]
	v_fma_f64 v[104:105], v[166:167], s[22:23], -v[187:188]
	v_mul_f64 v[187:188], v[162:163], s[26:27]
	v_fma_f64 v[191:192], v[122:123], s[28:29], v[209:210]
	s_mov_b32 s53, 0x3fc7851a
	s_mov_b32 s52, s8
	v_add_f64 v[183:184], v[193:194], v[183:184]
	v_fma_f64 v[185:186], v[132:133], s[30:31], v[197:198]
	v_add_f64 v[106:107], v[189:190], v[106:107]
	v_fma_f64 v[189:190], v[136:137], s[16:17], v[195:196]
	v_mul_f64 v[193:194], v[120:121], s[48:49]
	v_mul_f64 v[195:196], v[146:147], s[52:53]
	v_fma_f64 v[197:198], v[126:127], s[20:21], v[187:188]
	v_add_f64 v[191:192], v[18:19], v[191:192]
	v_fma_f64 v[199:200], v[168:169], s[22:23], v[207:208]
	v_mul_f64 v[211:212], v[154:155], s[50:51]
	v_add_f64 v[106:107], v[185:186], v[106:107]
	v_fma_f64 v[185:186], v[140:141], s[28:29], v[201:202]
	v_mul_f64 v[201:202], v[128:129], s[26:27]
	v_fma_f64 v[207:208], v[118:119], s[28:29], -v[193:194]
	v_fma_f64 v[213:214], v[134:135], s[6:7], v[195:196]
	v_add_f64 v[191:192], v[197:198], v[191:192]
	v_mul_f64 v[197:198], v[130:131], s[52:53]
	v_mul_f64 v[215:216], v[164:165], s[44:45]
	v_add_f64 v[106:107], v[189:190], v[106:107]
	v_fma_f64 v[189:190], v[150:151], s[14:15], v[205:206]
	v_fma_f64 v[205:206], v[124:125], s[20:21], -v[201:202]
	v_add_f64 v[207:208], v[16:17], v[207:208]
	v_fma_f64 v[217:218], v[138:139], s[30:31], v[211:212]
	v_add_f64 v[191:192], v[213:214], v[191:192]
	v_fma_f64 v[213:214], v[132:133], s[6:7], -v[197:198]
	v_fma_f64 v[219:220], v[142:143], s[22:23], v[215:216]
	v_add_f64 v[106:107], v[185:186], v[106:107]
	v_fma_f64 v[185:186], v[156:157], s[20:21], v[203:204]
	v_mul_f64 v[203:204], v[144:145], s[50:51]
	v_add_f64 v[205:206], v[205:206], v[207:208]
	v_mul_f64 v[207:208], v[174:175], s[2:3]
	v_add_f64 v[191:192], v[217:218], v[191:192]
	v_fma_f64 v[209:210], v[122:123], s[28:29], -v[209:210]
	v_fma_f64 v[187:188], v[126:127], s[20:21], -v[187:188]
	v_add_f64 v[106:107], v[189:190], v[106:107]
	v_mul_f64 v[189:190], v[148:149], s[44:45]
	v_fma_f64 v[217:218], v[136:137], s[30:31], -v[203:204]
	v_add_f64 v[205:206], v[213:214], v[205:206]
	v_mul_f64 v[213:214], v[176:177], s[40:41]
	v_fma_f64 v[221:222], v[152:153], s[16:17], v[207:208]
	v_add_f64 v[191:192], v[219:220], v[191:192]
	v_add_f64 v[209:210], v[18:19], v[209:210]
	v_fma_f64 v[195:196], v[134:135], s[6:7], -v[195:196]
	v_fma_f64 v[223:224], v[140:141], s[22:23], -v[189:190]
	v_mul_f64 v[219:220], v[170:171], s[2:3]
	v_add_f64 v[205:206], v[217:218], v[205:206]
	v_mul_f64 v[217:218], v[180:181], s[18:19]
	v_fma_f64 v[225:226], v[158:159], s[36:37], v[213:214]
	v_add_f64 v[191:192], v[221:222], v[191:192]
	v_add_f64 v[187:188], v[187:188], v[209:210]
	;; [unrolled: 1-line block ×3, first 2 shown]
	v_fma_f64 v[211:212], v[138:139], s[30:31], -v[211:212]
	v_mul_f64 v[221:222], v[172:173], s[40:41]
	v_add_f64 v[205:206], v[223:224], v[205:206]
	v_fma_f64 v[223:224], v[166:167], s[14:15], v[217:218]
	v_fma_f64 v[209:210], v[150:151], s[16:17], -v[219:220]
	v_add_f64 v[191:192], v[225:226], v[191:192]
	v_add_f64 v[187:188], v[195:196], v[187:188]
	;; [unrolled: 1-line block ×4, first 2 shown]
	v_fma_f64 v[104:105], v[142:143], s[22:23], -v[215:216]
	v_fma_f64 v[195:196], v[156:157], s[36:37], -v[221:222]
	v_fma_f64 v[193:194], v[118:119], s[28:29], v[193:194]
	v_add_f64 v[205:206], v[209:210], v[205:206]
	v_add_f64 v[106:107], v[223:224], v[191:192]
	v_mul_f64 v[191:192], v[160:161], s[46:47]
	v_add_f64 v[187:188], v[211:212], v[187:188]
	v_fma_f64 v[207:208], v[152:153], s[16:17], -v[207:208]
	v_mul_f64 v[209:210], v[162:163], s[40:41]
	v_fma_f64 v[201:202], v[124:125], s[20:21], v[201:202]
	v_add_f64 v[193:194], v[16:17], v[193:194]
	v_add_f64 v[195:196], v[195:196], v[205:206]
	v_fma_f64 v[205:206], v[166:167], s[14:15], -v[217:218]
	v_fma_f64 v[211:212], v[122:123], s[22:23], v[191:192]
	v_add_f64 v[104:105], v[104:105], v[187:188]
	v_fma_f64 v[187:188], v[158:159], s[36:37], -v[213:214]
	v_mul_f64 v[213:214], v[120:121], s[46:47]
	v_mul_f64 v[215:216], v[146:147], s[26:27]
	v_fma_f64 v[217:218], v[126:127], s[36:37], v[209:210]
	v_add_f64 v[22:23], v[18:19], v[22:23]
	v_add_f64 v[20:21], v[16:17], v[20:21]
	;; [unrolled: 1-line block ×4, first 2 shown]
	v_mul_f64 v[207:208], v[128:129], s[40:41]
	v_fma_f64 v[223:224], v[118:119], s[22:23], -v[213:214]
	v_fma_f64 v[197:198], v[132:133], s[6:7], v[197:198]
	v_add_f64 v[193:194], v[201:202], v[193:194]
	v_mul_f64 v[201:202], v[154:155], s[8:9]
	v_fma_f64 v[227:228], v[134:135], s[20:21], v[215:216]
	v_add_f64 v[211:212], v[217:218], v[211:212]
	v_mul_f64 v[217:218], v[130:131], s[26:27]
	v_fma_f64 v[229:230], v[124:125], s[36:37], -v[207:208]
	v_add_f64 v[223:224], v[16:17], v[223:224]
	v_add_f64 v[22:23], v[22:23], v[30:31]
	;; [unrolled: 1-line block ×4, first 2 shown]
	v_mul_f64 v[197:198], v[164:165], s[56:57]
	v_fma_f64 v[231:232], v[138:139], s[6:7], v[201:202]
	v_add_f64 v[211:212], v[227:228], v[211:212]
	v_mul_f64 v[227:228], v[144:145], s[8:9]
	v_fma_f64 v[233:234], v[132:133], s[20:21], -v[217:218]
	v_add_f64 v[223:224], v[229:230], v[223:224]
	v_add_f64 v[22:23], v[22:23], v[34:35]
	;; [unrolled: 1-line block ×3, first 2 shown]
	v_fma_f64 v[229:230], v[142:143], s[14:15], v[197:198]
	v_mul_f64 v[225:226], v[178:179], s[18:19]
	v_add_f64 v[211:212], v[231:232], v[211:212]
	v_mul_f64 v[231:232], v[148:149], s[56:57]
	v_fma_f64 v[235:236], v[136:137], s[6:7], -v[227:228]
	v_add_f64 v[223:224], v[233:234], v[223:224]
	v_add_f64 v[22:23], v[22:23], v[42:43]
	;; [unrolled: 1-line block ×3, first 2 shown]
	v_fma_f64 v[203:204], v[136:137], s[30:31], v[203:204]
	v_fma_f64 v[199:200], v[168:169], s[14:15], -v[225:226]
	v_add_f64 v[211:212], v[229:230], v[211:212]
	v_mul_f64 v[229:230], v[170:171], s[50:51]
	v_fma_f64 v[237:238], v[140:141], s[14:15], -v[231:232]
	v_add_f64 v[223:224], v[235:236], v[223:224]
	v_add_f64 v[22:23], v[22:23], v[46:47]
	;; [unrolled: 1-line block ×4, first 2 shown]
	v_fma_f64 v[191:192], v[122:123], s[22:23], -v[191:192]
	v_fma_f64 v[189:190], v[140:141], s[22:23], v[189:190]
	v_fma_f64 v[104:105], v[150:151], s[30:31], -v[229:230]
	v_add_f64 v[193:194], v[203:204], v[193:194]
	v_add_f64 v[223:224], v[237:238], v[223:224]
	;; [unrolled: 1-line block ×4, first 2 shown]
	v_mul_f64 v[203:204], v[174:175], s[50:51]
	v_add_f64 v[191:192], v[18:19], v[191:192]
	v_fma_f64 v[213:214], v[118:119], s[22:23], v[213:214]
	v_fma_f64 v[215:216], v[134:135], s[20:21], -v[215:216]
	v_add_f64 v[189:190], v[189:190], v[193:194]
	v_add_f64 v[223:224], v[104:105], v[223:224]
	;; [unrolled: 1-line block ×3, first 2 shown]
	v_fma_f64 v[195:196], v[126:127], s[36:37], -v[209:210]
	v_add_f64 v[22:23], v[22:23], v[62:63]
	v_add_f64 v[44:45], v[44:45], v[60:61]
	v_fma_f64 v[193:194], v[152:153], s[30:31], v[203:204]
	v_mul_f64 v[160:161], v[160:161], s[2:3]
	v_mul_f64 v[60:61], v[120:121], s[2:3]
	v_fma_f64 v[201:202], v[138:139], s[6:7], -v[201:202]
	v_mul_f64 v[162:163], v[162:163], s[46:47]
	v_add_f64 v[191:192], v[195:196], v[191:192]
	v_fma_f64 v[195:196], v[152:153], s[30:31], -v[203:204]
	v_fma_f64 v[203:204], v[124:125], s[36:37], v[207:208]
	v_add_f64 v[207:208], v[16:17], v[213:214]
	v_add_f64 v[22:23], v[22:23], v[70:71]
	;; [unrolled: 1-line block ×3, first 2 shown]
	v_fma_f64 v[213:214], v[122:123], s[16:17], v[160:161]
	v_fma_f64 v[122:123], v[122:123], s[16:17], -v[160:161]
	v_add_f64 v[191:192], v[215:216], v[191:192]
	v_fma_f64 v[215:216], v[132:133], s[20:21], v[217:218]
	v_mul_f64 v[128:129], v[128:129], s[46:47]
	v_add_f64 v[203:204], v[203:204], v[207:208]
	v_fma_f64 v[68:69], v[118:119], s[16:17], v[60:61]
	v_fma_f64 v[60:61], v[118:119], s[16:17], -v[60:61]
	v_add_f64 v[22:23], v[22:23], v[66:67]
	v_add_f64 v[44:45], v[44:45], v[64:65]
	v_fma_f64 v[219:220], v[150:151], s[16:17], v[219:220]
	v_fma_f64 v[197:198], v[142:143], s[14:15], -v[197:198]
	v_mul_f64 v[146:147], v[146:147], s[48:49]
	v_fma_f64 v[207:208], v[126:127], s[22:23], v[162:163]
	v_add_f64 v[213:214], v[18:19], v[213:214]
	v_add_f64 v[191:192], v[201:202], v[191:192]
	v_fma_f64 v[201:202], v[136:137], s[6:7], v[227:228]
	v_add_f64 v[28:29], v[215:216], v[203:204]
	v_mul_f64 v[70:71], v[130:131], s[48:49]
	v_fma_f64 v[118:119], v[126:127], s[22:23], -v[162:163]
	v_add_f64 v[18:19], v[18:19], v[122:123]
	v_fma_f64 v[122:123], v[124:125], s[22:23], v[128:129]
	v_add_f64 v[64:65], v[16:17], v[68:69]
	v_fma_f64 v[66:67], v[124:125], s[22:23], -v[128:129]
	v_add_f64 v[16:17], v[16:17], v[60:61]
	v_add_f64 v[22:23], v[22:23], v[54:55]
	;; [unrolled: 1-line block ×3, first 2 shown]
	v_mul_f64 v[233:234], v[176:177], s[42:43]
	v_add_f64 v[189:190], v[219:220], v[189:190]
	v_mul_f64 v[219:220], v[180:181], s[38:39]
	v_mul_f64 v[30:31], v[154:155], s[40:41]
	v_fma_f64 v[154:155], v[134:135], s[28:29], v[146:147]
	v_add_f64 v[203:204], v[207:208], v[213:214]
	v_add_f64 v[191:192], v[197:198], v[191:192]
	v_fma_f64 v[197:198], v[140:141], s[14:15], v[231:232]
	v_add_f64 v[28:29], v[201:202], v[28:29]
	v_mul_f64 v[144:145], v[144:145], s[40:41]
	v_fma_f64 v[60:61], v[134:135], s[28:29], -v[146:147]
	v_add_f64 v[18:19], v[118:119], v[18:19]
	v_fma_f64 v[68:69], v[132:133], s[28:29], v[70:71]
	v_add_f64 v[52:53], v[122:123], v[64:65]
	v_fma_f64 v[54:55], v[132:133], s[28:29], -v[70:71]
	v_add_f64 v[16:17], v[66:67], v[16:17]
	v_add_f64 v[22:23], v[22:23], v[50:51]
	;; [unrolled: 1-line block ×4, first 2 shown]
	v_mul_f64 v[211:212], v[172:173], s[42:43]
	v_fma_f64 v[237:238], v[166:167], s[16:17], v[219:220]
	v_fma_f64 v[209:210], v[166:167], s[16:17], -v[219:220]
	v_fma_f64 v[219:220], v[158:159], s[28:29], -v[233:234]
	v_mul_f64 v[32:33], v[164:165], s[34:35]
	v_fma_f64 v[34:35], v[138:139], s[36:37], v[30:31]
	v_add_f64 v[154:155], v[154:155], v[203:204]
	v_add_f64 v[164:165], v[195:196], v[191:192]
	v_fma_f64 v[191:192], v[150:151], s[30:31], v[229:230]
	v_add_f64 v[28:29], v[197:198], v[28:29]
	v_mul_f64 v[120:121], v[148:149], s[34:35]
	v_fma_f64 v[30:31], v[138:139], s[36:37], -v[30:31]
	v_add_f64 v[18:19], v[60:61], v[18:19]
	v_fma_f64 v[60:61], v[136:137], s[36:37], v[144:145]
	v_add_f64 v[48:49], v[68:69], v[52:53]
	v_fma_f64 v[50:51], v[136:137], s[36:37], -v[144:145]
	v_add_f64 v[16:17], v[54:55], v[16:17]
	v_add_f64 v[22:23], v[22:23], v[38:39]
	;; [unrolled: 1-line block ×3, first 2 shown]
	v_mul_f64 v[40:41], v[174:175], s[26:27]
	v_fma_f64 v[42:43], v[142:143], s[30:31], v[32:33]
	v_add_f64 v[34:35], v[34:35], v[154:155]
	v_add_f64 v[154:155], v[219:220], v[164:165]
	v_fma_f64 v[164:165], v[156:157], s[28:29], v[211:212]
	v_add_f64 v[28:29], v[191:192], v[28:29]
	v_mul_f64 v[62:63], v[170:171], s[26:27]
	v_fma_f64 v[32:33], v[142:143], s[30:31], -v[32:33]
	v_add_f64 v[18:19], v[30:31], v[18:19]
	v_fma_f64 v[30:31], v[140:141], s[30:31], v[120:121]
	v_add_f64 v[38:39], v[60:61], v[48:49]
	v_fma_f64 v[44:45], v[140:141], s[30:31], -v[120:121]
	v_add_f64 v[16:17], v[50:51], v[16:17]
	v_add_f64 v[22:23], v[22:23], v[26:27]
	;; [unrolled: 1-line block ×3, first 2 shown]
	v_mul_f64 v[46:47], v[176:177], s[18:19]
	v_fma_f64 v[174:175], v[152:153], s[20:21], v[40:41]
	v_add_f64 v[28:29], v[164:165], v[28:29]
	v_mul_f64 v[164:165], v[172:173], s[18:19]
	v_fma_f64 v[40:41], v[152:153], s[20:21], -v[40:41]
	v_add_f64 v[18:19], v[32:33], v[18:19]
	v_fma_f64 v[32:33], v[150:151], s[20:21], v[62:63]
	v_add_f64 v[26:27], v[30:31], v[38:39]
	v_fma_f64 v[235:236], v[158:159], s[28:29], v[233:234]
	v_add_f64 v[34:35], v[42:43], v[34:35]
	v_fma_f64 v[30:31], v[150:151], s[20:21], -v[62:63]
	v_add_f64 v[16:17], v[44:45], v[16:17]
	v_add_f64 v[14:15], v[22:23], v[14:15]
	;; [unrolled: 1-line block ×4, first 2 shown]
	v_mul_f64 v[56:57], v[180:181], s[8:9]
	v_mul_f64 v[154:155], v[178:179], s[8:9]
	v_fma_f64 v[36:37], v[158:159], s[14:15], -v[46:47]
	v_add_f64 v[18:19], v[40:41], v[18:19]
	v_fma_f64 v[38:39], v[156:157], s[14:15], v[164:165]
	v_add_f64 v[22:23], v[32:33], v[26:27]
	v_add_f64 v[193:194], v[235:236], v[193:194]
	v_mul_f64 v[235:236], v[178:179], s[38:39]
	v_fma_f64 v[221:222], v[156:157], s[36:37], v[221:222]
	v_fma_f64 v[239:240], v[156:157], s[28:29], -v[211:212]
	v_fma_f64 v[58:59], v[158:159], s[14:15], v[46:47]
	v_add_f64 v[34:35], v[174:175], v[34:35]
	v_fma_f64 v[24:25], v[156:157], s[14:15], -v[164:165]
	v_add_f64 v[16:17], v[30:31], v[16:17]
	v_add_f64 v[10:11], v[14:15], v[10:11]
	;; [unrolled: 1-line block ×3, first 2 shown]
	v_fma_f64 v[26:27], v[166:167], s[6:7], -v[56:57]
	v_add_f64 v[18:19], v[36:37], v[18:19]
	v_fma_f64 v[30:31], v[168:169], s[6:7], v[154:155]
	v_add_f64 v[22:23], v[38:39], v[22:23]
	v_fma_f64 v[42:43], v[168:169], s[16:17], v[235:236]
	v_fma_f64 v[225:226], v[168:169], s[14:15], v[225:226]
	v_add_f64 v[221:222], v[221:222], v[189:190]
	v_add_f64 v[189:190], v[205:206], v[187:188]
	v_fma_f64 v[199:200], v[168:169], s[16:17], -v[235:236]
	v_add_f64 v[205:206], v[239:240], v[223:224]
	v_fma_f64 v[32:33], v[166:167], s[6:7], v[56:57]
	v_add_f64 v[34:35], v[58:59], v[34:35]
	v_fma_f64 v[36:37], v[168:169], s[6:7], -v[154:155]
	v_add_f64 v[24:25], v[24:25], v[16:17]
	v_add_f64 v[12:13], v[10:11], v[6:7]
	;; [unrolled: 1-line block ×7, first 2 shown]
	s_movk_i32 s2, 0x110
	v_mad_u32_u24 v4, v112, s2, 0
	v_add_f64 v[193:194], v[237:238], v[193:194]
	v_add_f64 v[191:192], v[199:200], v[205:206]
	;; [unrolled: 1-line block ×4, first 2 shown]
	ds_write_b128 v4, v[10:13]
	ds_write_b128 v4, v[6:9] offset:16
	ds_write_b128 v4, v[18:21] offset:32
	;; [unrolled: 1-line block ×16, first 2 shown]
.LBB0_23:
	s_or_b64 exec, exec, s[24:25]
	s_movk_i32 s2, 0xf1
	v_mul_lo_u16_sdwa v4, v112, s2 dst_sel:DWORD dst_unused:UNUSED_PAD src0_sel:BYTE_0 src1_sel:DWORD
	v_lshrrev_b16_e32 v88, 12, v4
	v_mul_lo_u16_e32 v4, 17, v88
	v_sub_u16_e32 v89, v112, v4
	v_mov_b32_e32 v4, 7
	v_lshlrev_b32_sdwa v36, v4, v89 dst_sel:DWORD dst_unused:UNUSED_PAD src0_sel:DWORD src1_sel:BYTE_0
	s_waitcnt lgkmcnt(0)
	s_barrier
	global_load_dwordx4 v[4:7], v36, s[12:13]
	global_load_dwordx4 v[8:11], v36, s[12:13] offset:16
	global_load_dwordx4 v[12:15], v36, s[12:13] offset:32
	;; [unrolled: 1-line block ×7, first 2 shown]
	ds_read_b128 v[36:39], v182
	ds_read_b128 v[40:43], v182 offset:1632
	ds_read_b128 v[44:47], v182 offset:3264
	;; [unrolled: 1-line block ×8, first 2 shown]
	s_mov_b32 s22, 0xa2cf5039
	s_mov_b32 s9, 0x3fe491b7
	;; [unrolled: 1-line block ×16, first 2 shown]
	s_waitcnt vmcnt(0) lgkmcnt(0)
	s_barrier
	v_mul_f64 v[72:73], v[42:43], v[6:7]
	v_mul_f64 v[6:7], v[40:41], v[6:7]
	;; [unrolled: 1-line block ×16, first 2 shown]
	v_fma_f64 v[40:41], v[40:41], v[4:5], v[72:73]
	v_fma_f64 v[4:5], v[42:43], v[4:5], -v[6:7]
	v_fma_f64 v[6:7], v[44:45], v[8:9], v[74:75]
	v_fma_f64 v[8:9], v[46:47], v[8:9], -v[10:11]
	;; [unrolled: 2-line block ×8, first 2 shown]
	v_add_f64 v[22:23], v[40:41], v[14:15]
	v_add_f64 v[34:35], v[4:5], v[18:19]
	v_add_f64 v[40:41], v[40:41], -v[14:15]
	v_add_f64 v[18:19], v[4:5], -v[18:19]
	v_add_f64 v[44:45], v[6:7], v[32:33]
	v_add_f64 v[46:47], v[8:9], v[28:29]
	;; [unrolled: 1-line block ×3, first 2 shown]
	v_add_f64 v[4:5], v[6:7], -v[32:33]
	v_add_f64 v[6:7], v[8:9], -v[28:29]
	;; [unrolled: 1-line block ×3, first 2 shown]
	v_mul_f64 v[30:31], v[40:41], s[8:9]
	v_mul_f64 v[32:33], v[18:19], s[8:9]
	v_fma_f64 v[54:55], v[34:35], s[22:23], v[38:39]
	v_add_f64 v[50:51], v[12:13], v[24:25]
	v_add_f64 v[12:13], v[12:13], -v[24:25]
	v_add_f64 v[24:25], v[42:43], v[26:27]
	v_add_f64 v[10:11], v[16:17], -v[20:21]
	v_fma_f64 v[52:53], v[22:23], s[22:23], v[36:37]
	v_fma_f64 v[30:31], v[4:5], s[14:15], v[30:31]
	;; [unrolled: 1-line block ×4, first 2 shown]
	v_add_f64 v[8:9], v[42:43], -v[26:27]
	v_add_f64 v[28:29], v[16:17], v[20:21]
	s_mov_b32 s9, 0xbfe491b7
	v_fma_f64 v[56:57], v[24:25], s[22:23], v[36:37]
	v_mul_f64 v[82:83], v[10:11], s[8:9]
	v_fma_f64 v[52:53], v[44:45], s[18:19], v[52:53]
	v_fma_f64 v[30:31], v[14:15], s[2:3], v[30:31]
	;; [unrolled: 1-line block ×3, first 2 shown]
	v_fma_f64 v[54:55], v[50:51], -0.5, v[54:55]
	v_fma_f64 v[58:59], v[28:29], s[22:23], v[38:39]
	v_mul_f64 v[80:81], v[8:9], s[8:9]
	v_add_f64 v[62:63], v[10:11], v[18:19]
	v_mul_f64 v[74:75], v[10:11], s[14:15]
	v_fma_f64 v[56:57], v[22:23], s[18:19], v[56:57]
	v_fma_f64 v[82:83], v[18:19], s[14:15], v[82:83]
	v_fma_f64 v[52:53], v[48:49], -0.5, v[52:53]
	v_fma_f64 v[30:31], v[8:9], s[6:7], v[30:31]
	v_fma_f64 v[32:33], v[10:11], s[6:7], v[32:33]
	;; [unrolled: 1-line block ×3, first 2 shown]
	v_add_f64 v[68:69], v[44:45], v[22:23]
	v_add_f64 v[70:71], v[46:47], v[34:35]
	v_mul_f64 v[72:73], v[8:9], s[14:15]
	v_fma_f64 v[76:77], v[44:45], s[22:23], v[36:37]
	v_fma_f64 v[78:79], v[46:47], s[22:23], v[38:39]
	v_fma_f64 v[58:59], v[34:35], s[18:19], v[58:59]
	v_fma_f64 v[80:81], v[40:41], s[14:15], v[80:81]
	v_add_f64 v[60:61], v[8:9], v[40:41]
	v_fma_f64 v[56:57], v[48:49], -0.5, v[56:57]
	v_fma_f64 v[82:83], v[12:13], s[20:21], v[82:83]
	v_fma_f64 v[8:9], v[24:25], s[16:17], v[52:53]
	v_add_f64 v[10:11], v[30:31], v[10:11]
	v_add_f64 v[84:85], v[24:25], v[68:69]
	;; [unrolled: 1-line block ×3, first 2 shown]
	v_fma_f64 v[72:73], v[4:5], s[8:9], -v[72:73]
	v_fma_f64 v[58:59], v[50:51], -0.5, v[58:59]
	v_fma_f64 v[80:81], v[14:15], s[20:21], v[80:81]
	v_fma_f64 v[52:53], v[6:7], s[8:9], -v[74:75]
	v_fma_f64 v[24:25], v[24:25], s[18:19], v[76:77]
	v_fma_f64 v[28:29], v[28:29], s[18:19], v[78:79]
	v_add_f64 v[64:65], v[36:37], v[48:49]
	v_add_f64 v[66:67], v[38:39], v[50:51]
	v_add_f64 v[62:63], v[62:63], -v[6:7]
	v_add_f64 v[54:55], v[48:49], v[68:69]
	v_fma_f64 v[44:45], v[44:45], s[16:17], v[56:57]
	v_fma_f64 v[56:57], v[6:7], s[6:7], v[82:83]
	v_add_f64 v[8:9], v[8:9], -v[32:33]
	v_fma_f64 v[6:7], v[30:31], -2.0, v[10:11]
	v_add_f64 v[30:31], v[50:51], v[70:71]
	v_fma_f64 v[46:47], v[46:47], s[16:17], v[58:59]
	v_fma_f64 v[58:59], v[4:5], s[6:7], v[80:81]
	;; [unrolled: 1-line block ×4, first 2 shown]
	v_fma_f64 v[24:25], v[48:49], -0.5, v[24:25]
	v_fma_f64 v[28:29], v[50:51], -0.5, v[28:29]
	v_add_f64 v[60:61], v[60:61], -v[4:5]
	v_add_f64 v[12:13], v[44:45], -v[56:57]
	v_fma_f64 v[4:5], v[32:33], 2.0, v[8:9]
	v_fma_f64 v[32:33], v[84:85], -0.5, v[64:65]
	v_fma_f64 v[44:45], v[86:87], -0.5, v[66:67]
	v_add_f64 v[42:43], v[42:43], v[54:55]
	v_add_f64 v[30:31], v[16:17], v[30:31]
	;; [unrolled: 1-line block ×3, first 2 shown]
	v_fma_f64 v[40:41], v[40:41], s[6:7], v[68:69]
	v_fma_f64 v[46:47], v[18:19], s[6:7], v[52:53]
	;; [unrolled: 1-line block ×4, first 2 shown]
	v_mul_f64 v[34:35], v[60:61], s[2:3]
	v_fma_f64 v[16:17], v[62:63], s[20:21], v[32:33]
	v_fma_f64 v[18:19], v[60:61], s[2:3], v[44:45]
	v_add_f64 v[32:33], v[26:27], v[42:43]
	v_add_f64 v[42:43], v[20:21], v[30:31]
	v_mul_f64 v[28:29], v[62:63], s[2:3]
	v_add_f64 v[20:21], v[22:23], -v[46:47]
	v_add_f64 v[22:23], v[40:41], v[24:25]
	v_fma_f64 v[24:25], v[56:57], 2.0, v[12:13]
	v_fma_f64 v[26:27], v[58:59], -2.0, v[14:15]
	v_fma_f64 v[30:31], v[34:35], -2.0, v[18:19]
	v_add_f64 v[32:33], v[36:37], v[32:33]
	v_add_f64 v[34:35], v[38:39], v[42:43]
	v_fma_f64 v[28:29], v[28:29], 2.0, v[16:17]
	v_fma_f64 v[36:37], v[46:47], 2.0, v[20:21]
	v_fma_f64 v[38:39], v[40:41], -2.0, v[22:23]
	v_mov_b32_e32 v41, 4
	v_mul_u32_u24_e32 v40, 0x990, v88
	v_lshlrev_b32_sdwa v41, v41, v89 dst_sel:DWORD dst_unused:UNUSED_PAD src0_sel:DWORD src1_sel:BYTE_0
	v_add3_u32 v40, 0, v40, v41
	ds_write_b128 v40, v[32:35]
	ds_write_b128 v40, v[8:11] offset:272
	ds_write_b128 v40, v[12:15] offset:544
	;; [unrolled: 1-line block ×8, first 2 shown]
	s_waitcnt lgkmcnt(0)
	s_barrier
	ds_read_b128 v[12:15], v182
	ds_read_b128 v[8:11], v182 offset:1632
	ds_read_b128 v[28:31], v182 offset:7344
	;; [unrolled: 1-line block ×7, first 2 shown]
	s_and_saveexec_b64 s[2:3], vcc
	s_cbranch_execz .LBB0_25
; %bb.24:
	ds_read_b128 v[4:7], v182 offset:6528
	ds_read_b128 v[0:3], v182 offset:13872
.LBB0_25:
	s_or_b64 exec, exec, s[2:3]
	v_add_u32_e32 v42, 0x66, v112
	v_subrev_u32_e32 v40, 51, v112
	v_cndmask_b32_e32 v40, v40, v42, vcc
	v_mov_b32_e32 v41, 0
	v_mov_b32_e32 v56, s13
	v_add_co_u32_e64 v51, s[2:3], s12, v114
	v_lshlrev_b64 v[43:44], 4, v[40:41]
	v_addc_co_u32_e64 v52, s[2:3], v56, v115, s[2:3]
	v_add_co_u32_e64 v53, s[2:3], s12, v43
	v_add_u32_e32 v55, 0x132, v112
	v_addc_co_u32_e64 v54, s[2:3], v56, v44, s[2:3]
	s_movk_i32 s6, 0x358b
	global_load_dwordx4 v[43:46], v[51:52], off offset:2176
	global_load_dwordx4 v[47:50], v[53:54], off offset:2176
	v_add_co_u32_e64 v51, s[2:3], s12, v116
	v_mul_u32_u24_sdwa v53, v55, s6 dst_sel:DWORD dst_unused:UNUSED_PAD src0_sel:WORD_0 src1_sel:DWORD
	v_addc_co_u32_e64 v52, s[2:3], v56, v117, s[2:3]
	v_lshrrev_b32_e32 v56, 21, v53
	v_mul_lo_u16_e32 v56, 0x99, v56
	global_load_dwordx4 v[51:54], v[51:52], off offset:2992
	v_sub_u16_e32 v55, v55, v56
	v_lshlrev_b32_e32 v67, 4, v55
	global_load_dwordx4 v[55:58], v67, s[12:13] offset:2176
	v_mov_b32_e32 v59, 0x1320
	v_cmp_lt_u32_e64 s[2:3], 50, v112
	v_cndmask_b32_e64 v59, 0, v59, s[2:3]
	v_lshlrev_b32_e32 v40, 4, v40
	v_add3_u32 v40, 0, v59, v40
	s_waitcnt vmcnt(0) lgkmcnt(0)
	s_barrier
	v_mul_f64 v[59:60], v[30:31], v[45:46]
	v_mul_f64 v[45:46], v[28:29], v[45:46]
	;; [unrolled: 1-line block ×4, first 2 shown]
	v_fma_f64 v[28:29], v[28:29], v[43:44], v[59:60]
	v_mul_f64 v[61:62], v[38:39], v[53:54]
	v_mul_f64 v[53:54], v[36:37], v[53:54]
	v_fma_f64 v[30:31], v[30:31], v[43:44], -v[45:46]
	v_mul_f64 v[65:66], v[34:35], v[57:58]
	v_mul_f64 v[57:58], v[32:33], v[57:58]
	v_fma_f64 v[43:44], v[24:25], v[47:48], v[63:64]
	v_fma_f64 v[45:46], v[26:27], v[47:48], -v[49:50]
	v_add_f64 v[24:25], v[12:13], -v[28:29]
	v_fma_f64 v[36:37], v[36:37], v[51:52], v[61:62]
	v_fma_f64 v[38:39], v[38:39], v[51:52], -v[53:54]
	v_add_f64 v[26:27], v[14:15], -v[30:31]
	;; [unrolled: 3-line block ×3, first 2 shown]
	v_add_f64 v[34:35], v[10:11], -v[45:46]
	v_fma_f64 v[12:13], v[12:13], 2.0, -v[24:25]
	v_add_f64 v[28:29], v[16:17], -v[36:37]
	v_add_f64 v[30:31], v[18:19], -v[38:39]
	v_fma_f64 v[14:15], v[14:15], 2.0, -v[26:27]
	v_add_f64 v[36:37], v[20:21], -v[47:48]
	v_add_f64 v[38:39], v[22:23], -v[49:50]
	v_fma_f64 v[8:9], v[8:9], 2.0, -v[32:33]
	v_fma_f64 v[10:11], v[10:11], 2.0, -v[34:35]
	v_add_u32_e32 v43, 0, v67
	v_fma_f64 v[16:17], v[16:17], 2.0, -v[28:29]
	v_fma_f64 v[18:19], v[18:19], 2.0, -v[30:31]
	;; [unrolled: 1-line block ×4, first 2 shown]
	ds_write_b128 v182, v[24:27] offset:2448
	ds_write_b128 v182, v[12:15]
	ds_write_b128 v40, v[32:35] offset:2448
	ds_write_b128 v40, v[8:11]
	ds_write_b128 v182, v[16:19] offset:5712
	ds_write_b128 v182, v[28:31] offset:8160
	;; [unrolled: 1-line block ×4, first 2 shown]
	s_and_saveexec_b64 s[2:3], vcc
	s_cbranch_execz .LBB0_27
; %bb.26:
	v_add_u32_e32 v8, 0x198, v112
	v_mul_u32_u24_sdwa v9, v8, s6 dst_sel:DWORD dst_unused:UNUSED_PAD src0_sel:WORD_0 src1_sel:DWORD
	v_lshrrev_b32_e32 v9, 21, v9
	v_mul_lo_u16_e32 v9, 0x99, v9
	v_sub_u16_e32 v8, v8, v9
	v_lshlrev_b32_e32 v14, 4, v8
	global_load_dwordx4 v[8:11], v14, s[12:13] offset:2176
	s_waitcnt vmcnt(0)
	v_mul_f64 v[12:13], v[0:1], v[10:11]
	v_mul_f64 v[10:11], v[2:3], v[10:11]
	v_fma_f64 v[2:3], v[2:3], v[8:9], -v[12:13]
	v_fma_f64 v[0:1], v[0:1], v[8:9], v[10:11]
	v_add_u32_e32 v8, 0, v14
	v_add_f64 v[2:3], v[6:7], -v[2:3]
	v_add_f64 v[0:1], v[4:5], -v[0:1]
	v_fma_f64 v[6:7], v[6:7], 2.0, -v[2:3]
	v_fma_f64 v[4:5], v[4:5], 2.0, -v[0:1]
	ds_write_b128 v8, v[4:7] offset:9792
	ds_write_b128 v8, v[0:3] offset:12240
.LBB0_27:
	s_or_b64 exec, exec, s[2:3]
	v_lshlrev_b32_e32 v40, 1, v112
	v_lshlrev_b64 v[0:1], 4, v[40:41]
	v_mov_b32_e32 v20, s13
	v_add_co_u32_e32 v0, vcc, s12, v0
	v_addc_co_u32_e32 v1, vcc, v20, v1, vcc
	s_movk_i32 s2, 0x1210
	v_add_co_u32_e32 v8, vcc, s2, v0
	v_addc_co_u32_e32 v9, vcc, 0, v1, vcc
	s_movk_i32 s3, 0x1000
	v_add_co_u32_e32 v10, vcc, s3, v0
	v_addc_co_u32_e32 v11, vcc, 0, v1, vcc
	s_waitcnt lgkmcnt(0)
	s_barrier
	global_load_dwordx4 v[0:3], v[10:11], off offset:528
	global_load_dwordx4 v[4:7], v[8:9], off offset:16
	v_lshlrev_b32_e32 v8, 1, v42
	v_mov_b32_e32 v9, v41
	v_lshlrev_b64 v[8:9], 4, v[8:9]
	v_add_u32_e32 v40, 0x198, v40
	v_add_co_u32_e32 v8, vcc, s12, v8
	v_addc_co_u32_e32 v9, vcc, v20, v9, vcc
	v_add_co_u32_e32 v16, vcc, s2, v8
	v_addc_co_u32_e32 v17, vcc, 0, v9, vcc
	;; [unrolled: 2-line block ×3, first 2 shown]
	global_load_dwordx4 v[8:11], v[18:19], off offset:528
	global_load_dwordx4 v[12:15], v[16:17], off offset:16
	v_lshlrev_b64 v[16:17], 4, v[40:41]
	s_mov_b32 s7, 0x3febb67a
	v_add_co_u32_e32 v21, vcc, s12, v16
	v_addc_co_u32_e32 v22, vcc, v20, v17, vcc
	v_add_co_u32_e32 v16, vcc, s3, v21
	v_addc_co_u32_e32 v17, vcc, 0, v22, vcc
	global_load_dwordx4 v[16:19], v[16:17], off offset:528
	v_add_co_u32_e32 v20, vcc, s2, v21
	v_addc_co_u32_e32 v21, vcc, 0, v22, vcc
	global_load_dwordx4 v[20:23], v[20:21], off offset:16
	ds_read_b128 v[24:27], v182
	ds_read_b128 v[28:31], v182 offset:1632
	ds_read_b128 v[32:35], v182 offset:9792
	;; [unrolled: 1-line block ×8, first 2 shown]
	s_mov_b32 s2, 0xe8584caa
	s_mov_b32 s3, 0xbfebb67a
	s_mov_b32 s6, s2
	s_waitcnt vmcnt(0) lgkmcnt(0)
	s_barrier
	v_mul_f64 v[60:61], v[42:43], v[2:3]
	v_mul_f64 v[2:3], v[40:41], v[2:3]
	;; [unrolled: 1-line block ×4, first 2 shown]
	v_fma_f64 v[40:41], v[40:41], v[0:1], v[60:61]
	v_fma_f64 v[0:1], v[42:43], v[0:1], -v[2:3]
	v_fma_f64 v[2:3], v[32:33], v[4:5], v[62:63]
	v_fma_f64 v[4:5], v[34:35], v[4:5], -v[6:7]
	v_mul_f64 v[64:65], v[50:51], v[10:11]
	v_mul_f64 v[66:67], v[38:39], v[14:15]
	;; [unrolled: 1-line block ×4, first 2 shown]
	v_fma_f64 v[6:7], v[48:49], v[8:9], v[64:65]
	v_fma_f64 v[32:33], v[36:37], v[12:13], v[66:67]
	v_fma_f64 v[8:9], v[50:51], v[8:9], -v[10:11]
	v_fma_f64 v[34:35], v[38:39], v[12:13], -v[14:15]
	v_mul_f64 v[68:69], v[54:55], v[18:19]
	v_mul_f64 v[18:19], v[52:53], v[18:19]
	v_add_f64 v[12:13], v[40:41], v[2:3]
	v_add_f64 v[14:15], v[0:1], -v[4:5]
	v_add_f64 v[10:11], v[24:25], v[40:41]
	v_mul_f64 v[70:71], v[58:59], v[22:23]
	v_mul_f64 v[22:23], v[56:57], v[22:23]
	v_add_f64 v[48:49], v[8:9], -v[34:35]
	v_fma_f64 v[36:37], v[52:53], v[16:17], v[68:69]
	v_fma_f64 v[18:19], v[54:55], v[16:17], -v[18:19]
	v_add_f64 v[16:17], v[26:27], v[0:1]
	v_add_f64 v[0:1], v[0:1], v[4:5]
	v_add_f64 v[50:51], v[30:31], v[8:9]
	v_fma_f64 v[38:39], v[56:57], v[20:21], v[70:71]
	v_fma_f64 v[42:43], v[58:59], v[20:21], -v[22:23]
	v_add_f64 v[20:21], v[40:41], -v[2:3]
	v_add_f64 v[40:41], v[6:7], v[32:33]
	v_add_f64 v[22:23], v[28:29], v[6:7]
	;; [unrolled: 1-line block ×3, first 2 shown]
	v_fma_f64 v[12:13], v[12:13], -0.5, v[24:25]
	v_fma_f64 v[26:27], v[0:1], -0.5, v[26:27]
	v_add_f64 v[52:53], v[36:37], v[38:39]
	v_add_f64 v[24:25], v[18:19], v[42:43]
	;; [unrolled: 1-line block ×3, first 2 shown]
	v_fma_f64 v[28:29], v[40:41], -0.5, v[28:29]
	v_add_f64 v[2:3], v[16:17], v[4:5]
	v_add_f64 v[4:5], v[22:23], v[32:33]
	v_fma_f64 v[22:23], v[8:9], -0.5, v[30:31]
	v_fma_f64 v[8:9], v[14:15], s[2:3], v[12:13]
	v_fma_f64 v[12:13], v[14:15], s[6:7], v[12:13]
	v_fma_f64 v[10:11], v[20:21], s[6:7], v[26:27]
	v_fma_f64 v[14:15], v[20:21], s[2:3], v[26:27]
	v_add_f64 v[26:27], v[6:7], -v[32:33]
	v_fma_f64 v[16:17], v[48:49], s[2:3], v[28:29]
	v_fma_f64 v[20:21], v[48:49], s[6:7], v[28:29]
	v_add_f64 v[28:29], v[44:45], v[36:37]
	v_add_f64 v[40:41], v[46:47], v[18:19]
	v_fma_f64 v[30:31], v[52:53], -0.5, v[44:45]
	v_add_f64 v[32:33], v[18:19], -v[42:43]
	v_fma_f64 v[44:45], v[24:25], -0.5, v[46:47]
	v_add_f64 v[36:37], v[36:37], -v[38:39]
	v_add_f64 v[6:7], v[50:51], v[34:35]
	v_fma_f64 v[18:19], v[26:27], s[6:7], v[22:23]
	v_fma_f64 v[22:23], v[26:27], s[2:3], v[22:23]
	v_add_f64 v[24:25], v[28:29], v[38:39]
	v_add_f64 v[26:27], v[40:41], v[42:43]
	v_fma_f64 v[28:29], v[32:33], s[2:3], v[30:31]
	v_fma_f64 v[32:33], v[32:33], s[6:7], v[30:31]
	;; [unrolled: 1-line block ×4, first 2 shown]
	ds_write_b128 v182, v[0:3]
	ds_write_b128 v182, v[8:11] offset:4896
	ds_write_b128 v182, v[12:15] offset:9792
	;; [unrolled: 1-line block ×8, first 2 shown]
	s_waitcnt lgkmcnt(0)
	s_barrier
	s_and_saveexec_b64 s[2:3], s[0:1]
	s_cbranch_execz .LBB0_29
; %bb.28:
	v_mul_lo_u32 v0, s5, v110
	v_mul_lo_u32 v1, s4, v111
	v_mad_u64_u32 v[4:5], s[0:1], s4, v110, 0
	v_mov_b32_e32 v6, s11
	v_lshl_add_u32 v10, v112, 4, 0
	v_add3_u32 v5, v5, v1, v0
	v_lshlrev_b64 v[4:5], 4, v[4:5]
	v_mov_b32_e32 v113, 0
	v_add_co_u32_e32 v7, vcc, s10, v4
	v_addc_co_u32_e32 v6, vcc, v6, v5, vcc
	v_lshlrev_b64 v[4:5], 4, v[108:109]
	ds_read_b128 v[0:3], v10
	v_add_co_u32_e32 v11, vcc, v7, v4
	v_addc_co_u32_e32 v12, vcc, v6, v5, vcc
	v_lshlrev_b64 v[4:5], 4, v[112:113]
	v_add_co_u32_e32 v8, vcc, v11, v4
	v_addc_co_u32_e32 v9, vcc, v12, v5, vcc
	ds_read_b128 v[4:7], v10 offset:1632
	s_waitcnt lgkmcnt(1)
	global_store_dwordx4 v[8:9], v[0:3], off
	s_nop 0
	v_add_u32_e32 v0, 0x66, v112
	v_mov_b32_e32 v1, v113
	v_lshlrev_b64 v[0:1], 4, v[0:1]
	v_add_co_u32_e32 v0, vcc, v11, v0
	v_addc_co_u32_e32 v1, vcc, v12, v1, vcc
	s_waitcnt lgkmcnt(0)
	global_store_dwordx4 v[0:1], v[4:7], off
	ds_read_b128 v[0:3], v10 offset:3264
	v_add_u32_e32 v4, 0xcc, v112
	v_mov_b32_e32 v5, v113
	v_lshlrev_b64 v[4:5], 4, v[4:5]
	v_add_co_u32_e32 v8, vcc, v11, v4
	v_addc_co_u32_e32 v9, vcc, v12, v5, vcc
	ds_read_b128 v[4:7], v10 offset:4896
	s_waitcnt lgkmcnt(1)
	global_store_dwordx4 v[8:9], v[0:3], off
	s_nop 0
	v_add_u32_e32 v0, 0x132, v112
	v_mov_b32_e32 v1, v113
	v_lshlrev_b64 v[0:1], 4, v[0:1]
	v_add_co_u32_e32 v0, vcc, v11, v0
	v_addc_co_u32_e32 v1, vcc, v12, v1, vcc
	s_waitcnt lgkmcnt(0)
	global_store_dwordx4 v[0:1], v[4:7], off
	ds_read_b128 v[0:3], v10 offset:6528
	v_add_u32_e32 v4, 0x198, v112
	v_mov_b32_e32 v5, v113
	v_lshlrev_b64 v[4:5], 4, v[4:5]
	v_add_co_u32_e32 v8, vcc, v11, v4
	v_addc_co_u32_e32 v9, vcc, v12, v5, vcc
	ds_read_b128 v[4:7], v10 offset:8160
	s_waitcnt lgkmcnt(1)
	global_store_dwordx4 v[8:9], v[0:3], off
	s_nop 0
	v_add_u32_e32 v0, 0x1fe, v112
	v_mov_b32_e32 v1, v113
	v_lshlrev_b64 v[0:1], 4, v[0:1]
	v_add_co_u32_e32 v0, vcc, v11, v0
	v_addc_co_u32_e32 v1, vcc, v12, v1, vcc
	s_waitcnt lgkmcnt(0)
	global_store_dwordx4 v[0:1], v[4:7], off
	ds_read_b128 v[0:3], v10 offset:9792
	v_add_u32_e32 v4, 0x264, v112
	v_mov_b32_e32 v5, v113
	v_lshlrev_b64 v[4:5], 4, v[4:5]
	v_add_co_u32_e32 v8, vcc, v11, v4
	v_addc_co_u32_e32 v9, vcc, v12, v5, vcc
	ds_read_b128 v[4:7], v10 offset:11424
	s_waitcnt lgkmcnt(1)
	global_store_dwordx4 v[8:9], v[0:3], off
	s_nop 0
	v_add_u32_e32 v0, 0x2ca, v112
	v_mov_b32_e32 v1, v113
	v_lshlrev_b64 v[0:1], 4, v[0:1]
	v_add_u32_e32 v112, 0x330, v112
	v_add_co_u32_e32 v0, vcc, v11, v0
	v_addc_co_u32_e32 v1, vcc, v12, v1, vcc
	s_waitcnt lgkmcnt(0)
	global_store_dwordx4 v[0:1], v[4:7], off
	ds_read_b128 v[0:3], v10 offset:13056
	v_lshlrev_b64 v[4:5], 4, v[112:113]
	v_add_co_u32_e32 v4, vcc, v11, v4
	v_addc_co_u32_e32 v5, vcc, v12, v5, vcc
	s_waitcnt lgkmcnt(0)
	global_store_dwordx4 v[4:5], v[0:3], off
.LBB0_29:
	s_endpgm
	.section	.rodata,"a",@progbits
	.p2align	6, 0x0
	.amdhsa_kernel fft_rtc_back_len918_factors_17_9_2_3_wgs_102_tpt_102_halfLds_dp_op_CI_CI_unitstride_sbrr_C2R_dirReg
		.amdhsa_group_segment_fixed_size 0
		.amdhsa_private_segment_fixed_size 0
		.amdhsa_kernarg_size 104
		.amdhsa_user_sgpr_count 6
		.amdhsa_user_sgpr_private_segment_buffer 1
		.amdhsa_user_sgpr_dispatch_ptr 0
		.amdhsa_user_sgpr_queue_ptr 0
		.amdhsa_user_sgpr_kernarg_segment_ptr 1
		.amdhsa_user_sgpr_dispatch_id 0
		.amdhsa_user_sgpr_flat_scratch_init 0
		.amdhsa_user_sgpr_private_segment_size 0
		.amdhsa_uses_dynamic_stack 0
		.amdhsa_system_sgpr_private_segment_wavefront_offset 0
		.amdhsa_system_sgpr_workgroup_id_x 1
		.amdhsa_system_sgpr_workgroup_id_y 0
		.amdhsa_system_sgpr_workgroup_id_z 0
		.amdhsa_system_sgpr_workgroup_info 0
		.amdhsa_system_vgpr_workitem_id 0
		.amdhsa_next_free_vgpr 241
		.amdhsa_next_free_sgpr 58
		.amdhsa_reserve_vcc 1
		.amdhsa_reserve_flat_scratch 0
		.amdhsa_float_round_mode_32 0
		.amdhsa_float_round_mode_16_64 0
		.amdhsa_float_denorm_mode_32 3
		.amdhsa_float_denorm_mode_16_64 3
		.amdhsa_dx10_clamp 1
		.amdhsa_ieee_mode 1
		.amdhsa_fp16_overflow 0
		.amdhsa_exception_fp_ieee_invalid_op 0
		.amdhsa_exception_fp_denorm_src 0
		.amdhsa_exception_fp_ieee_div_zero 0
		.amdhsa_exception_fp_ieee_overflow 0
		.amdhsa_exception_fp_ieee_underflow 0
		.amdhsa_exception_fp_ieee_inexact 0
		.amdhsa_exception_int_div_zero 0
	.end_amdhsa_kernel
	.text
.Lfunc_end0:
	.size	fft_rtc_back_len918_factors_17_9_2_3_wgs_102_tpt_102_halfLds_dp_op_CI_CI_unitstride_sbrr_C2R_dirReg, .Lfunc_end0-fft_rtc_back_len918_factors_17_9_2_3_wgs_102_tpt_102_halfLds_dp_op_CI_CI_unitstride_sbrr_C2R_dirReg
                                        ; -- End function
	.section	.AMDGPU.csdata,"",@progbits
; Kernel info:
; codeLenInByte = 12696
; NumSgprs: 62
; NumVgprs: 241
; ScratchSize: 0
; MemoryBound: 0
; FloatMode: 240
; IeeeMode: 1
; LDSByteSize: 0 bytes/workgroup (compile time only)
; SGPRBlocks: 7
; VGPRBlocks: 60
; NumSGPRsForWavesPerEU: 62
; NumVGPRsForWavesPerEU: 241
; Occupancy: 1
; WaveLimiterHint : 1
; COMPUTE_PGM_RSRC2:SCRATCH_EN: 0
; COMPUTE_PGM_RSRC2:USER_SGPR: 6
; COMPUTE_PGM_RSRC2:TRAP_HANDLER: 0
; COMPUTE_PGM_RSRC2:TGID_X_EN: 1
; COMPUTE_PGM_RSRC2:TGID_Y_EN: 0
; COMPUTE_PGM_RSRC2:TGID_Z_EN: 0
; COMPUTE_PGM_RSRC2:TIDIG_COMP_CNT: 0
	.type	__hip_cuid_38e3826f88e8f53,@object ; @__hip_cuid_38e3826f88e8f53
	.section	.bss,"aw",@nobits
	.globl	__hip_cuid_38e3826f88e8f53
__hip_cuid_38e3826f88e8f53:
	.byte	0                               ; 0x0
	.size	__hip_cuid_38e3826f88e8f53, 1

	.ident	"AMD clang version 19.0.0git (https://github.com/RadeonOpenCompute/llvm-project roc-6.4.0 25133 c7fe45cf4b819c5991fe208aaa96edf142730f1d)"
	.section	".note.GNU-stack","",@progbits
	.addrsig
	.addrsig_sym __hip_cuid_38e3826f88e8f53
	.amdgpu_metadata
---
amdhsa.kernels:
  - .args:
      - .actual_access:  read_only
        .address_space:  global
        .offset:         0
        .size:           8
        .value_kind:     global_buffer
      - .offset:         8
        .size:           8
        .value_kind:     by_value
      - .actual_access:  read_only
        .address_space:  global
        .offset:         16
        .size:           8
        .value_kind:     global_buffer
      - .actual_access:  read_only
        .address_space:  global
        .offset:         24
        .size:           8
        .value_kind:     global_buffer
      - .actual_access:  read_only
        .address_space:  global
        .offset:         32
        .size:           8
        .value_kind:     global_buffer
      - .offset:         40
        .size:           8
        .value_kind:     by_value
      - .actual_access:  read_only
        .address_space:  global
        .offset:         48
        .size:           8
        .value_kind:     global_buffer
      - .actual_access:  read_only
        .address_space:  global
        .offset:         56
        .size:           8
        .value_kind:     global_buffer
      - .offset:         64
        .size:           4
        .value_kind:     by_value
      - .actual_access:  read_only
        .address_space:  global
        .offset:         72
        .size:           8
        .value_kind:     global_buffer
      - .actual_access:  read_only
        .address_space:  global
        .offset:         80
        .size:           8
        .value_kind:     global_buffer
      - .actual_access:  read_only
        .address_space:  global
        .offset:         88
        .size:           8
        .value_kind:     global_buffer
      - .actual_access:  write_only
        .address_space:  global
        .offset:         96
        .size:           8
        .value_kind:     global_buffer
    .group_segment_fixed_size: 0
    .kernarg_segment_align: 8
    .kernarg_segment_size: 104
    .language:       OpenCL C
    .language_version:
      - 2
      - 0
    .max_flat_workgroup_size: 102
    .name:           fft_rtc_back_len918_factors_17_9_2_3_wgs_102_tpt_102_halfLds_dp_op_CI_CI_unitstride_sbrr_C2R_dirReg
    .private_segment_fixed_size: 0
    .sgpr_count:     62
    .sgpr_spill_count: 0
    .symbol:         fft_rtc_back_len918_factors_17_9_2_3_wgs_102_tpt_102_halfLds_dp_op_CI_CI_unitstride_sbrr_C2R_dirReg.kd
    .uniform_work_group_size: 1
    .uses_dynamic_stack: false
    .vgpr_count:     241
    .vgpr_spill_count: 0
    .wavefront_size: 64
amdhsa.target:   amdgcn-amd-amdhsa--gfx906
amdhsa.version:
  - 1
  - 2
...

	.end_amdgpu_metadata
